;; amdgpu-corpus repo=ROCm/rocFFT kind=compiled arch=gfx950 opt=O3
	.text
	.amdgcn_target "amdgcn-amd-amdhsa--gfx950"
	.amdhsa_code_object_version 6
	.protected	bluestein_single_back_len756_dim1_half_op_CI_CI ; -- Begin function bluestein_single_back_len756_dim1_half_op_CI_CI
	.globl	bluestein_single_back_len756_dim1_half_op_CI_CI
	.p2align	8
	.type	bluestein_single_back_len756_dim1_half_op_CI_CI,@function
bluestein_single_back_len756_dim1_half_op_CI_CI: ; @bluestein_single_back_len756_dim1_half_op_CI_CI
; %bb.0:
	s_load_dwordx4 s[12:15], s[0:1], 0x28
	v_mul_u32_u24_e32 v1, 0x411, v0
	v_mov_b32_e32 v9, 0
	v_add_u32_sdwa v12, s2, v1 dst_sel:DWORD dst_unused:UNUSED_PAD src0_sel:DWORD src1_sel:WORD_1
	v_mov_b32_e32 v13, v9
	s_waitcnt lgkmcnt(0)
	v_cmp_gt_u64_e32 vcc, s[12:13], v[12:13]
	s_and_saveexec_b64 s[2:3], vcc
	s_cbranch_execz .LBB0_10
; %bb.1:
	s_load_dwordx4 s[4:7], s[0:1], 0x18
	s_load_dwordx4 s[8:11], s[0:1], 0x0
	v_mov_b32_e32 v2, s14
	v_mov_b32_e32 v3, s15
	;; [unrolled: 1-line block ×3, first 2 shown]
	s_waitcnt lgkmcnt(0)
	s_load_dwordx4 s[12:15], s[4:5], 0x0
	v_mul_lo_u16_sdwa v1, v1, v4 dst_sel:DWORD dst_unused:UNUSED_PAD src0_sel:WORD_1 src1_sel:DWORD
	v_sub_u16_e32 v10, v0, v1
	v_lshlrev_b32_e32 v8, 2, v10
	global_load_dword v60, v8, s[8:9]
	global_load_dword v59, v8, s[8:9] offset:1512
	s_waitcnt lgkmcnt(0)
	v_mad_u64_u32 v[0:1], s[2:3], s14, v12, 0
	v_mov_b32_e32 v4, v1
	v_mad_u64_u32 v[4:5], s[2:3], s15, v12, v[4:5]
	v_mov_b32_e32 v1, v4
	;; [unrolled: 2-line block ×4, first 2 shown]
	v_lshl_add_u64 v[0:1], v[0:1], 2, v[2:3]
	v_lshl_add_u64 v[0:1], v[4:5], 2, v[0:1]
	v_mov_b32_e32 v5, 0x5e8
	global_load_dword v4, v[0:1], off
	v_mad_u64_u32 v[0:1], s[2:3], s12, v5, v[0:1]
	s_mul_i32 s14, s13, 0x5e8
	v_add_u32_e32 v1, s14, v1
	v_mov_b32_e32 v2, 0xfffffb14
	global_load_dword v6, v[0:1], off
	v_mad_u64_u32 v[0:1], s[2:3], s12, v2, v[0:1]
	s_mul_i32 s2, s13, 0xfffffb14
	s_sub_i32 s4, s2, s12
	v_add_u32_e32 v1, s4, v1
	global_load_dword v7, v[0:1], off
	global_load_dword v58, v8, s[8:9] offset:252
	v_mad_u64_u32 v[0:1], s[2:3], s12, v5, v[0:1]
	v_add_u32_e32 v1, s14, v1
	global_load_dword v14, v[0:1], off
	global_load_dword v57, v8, s[8:9] offset:1764
	v_mad_u64_u32 v[0:1], s[2:3], s12, v2, v[0:1]
	;; [unrolled: 4-line block ×9, first 2 shown]
	s_mov_b32 s5, 0
	v_add_u32_e32 v3, s14, v3
	v_mov_b32_e32 v11, s5
	s_load_dwordx4 s[4:7], s[6:7], 0x0
	global_load_dword v22, v[2:3], off
	global_load_dword v13, v8, s[8:9] offset:2772
	v_lshl_add_u64 v[0:1], v[10:11], 0, 63
	s_mov_b64 s[2:3], 0x7e
	v_add_u32_e32 v81, 0x200, v8
	v_add_u32_e32 v83, 0x600, v8
	v_lshlrev_b32_e32 v61, 3, v10
	v_lshlrev_b32_e32 v63, 3, v0
	;; [unrolled: 1-line block ×3, first 2 shown]
	v_and_b32_e32 v34, 3, v0
	s_movk_i32 s12, 0xab
	v_cmp_gt_u16_e32 vcc, 36, v10
	s_load_dwordx2 s[0:1], s[0:1], 0x38
	s_waitcnt vmcnt(21)
	v_lshrrev_b32_e32 v1, 16, v4
	v_mul_f16_sdwa v2, v60, v4 dst_sel:DWORD dst_unused:UNUSED_PAD src0_sel:WORD_1 src1_sel:DWORD
	v_mul_f16_sdwa v3, v60, v1 dst_sel:DWORD dst_unused:UNUSED_PAD src0_sel:WORD_1 src1_sel:DWORD
	v_fma_f16 v1, v60, v1, -v2
	v_fma_f16 v2, v60, v4, v3
	v_pack_b32_f16 v1, v2, v1
	s_waitcnt vmcnt(20)
	v_lshrrev_b32_e32 v3, 16, v6
	v_mul_f16_sdwa v4, v59, v6 dst_sel:DWORD dst_unused:UNUSED_PAD src0_sel:WORD_1 src1_sel:DWORD
	v_mul_f16_sdwa v2, v59, v3 dst_sel:DWORD dst_unused:UNUSED_PAD src0_sel:WORD_1 src1_sel:DWORD
	v_fma_f16 v3, v59, v3, -v4
	v_fma_f16 v2, v59, v6, v2
	s_waitcnt vmcnt(19)
	v_lshrrev_b32_e32 v4, 16, v7
	v_pack_b32_f16 v2, v2, v3
	ds_write_b32 v8, v2 offset:1512
	s_waitcnt vmcnt(18)
	v_mul_f16_sdwa v2, v58, v4 dst_sel:DWORD dst_unused:UNUSED_PAD src0_sel:WORD_1 src1_sel:DWORD
	v_mul_f16_sdwa v3, v58, v7 dst_sel:DWORD dst_unused:UNUSED_PAD src0_sel:WORD_1 src1_sel:DWORD
	v_fma_f16 v2, v58, v7, v2
	v_fma_f16 v3, v58, v4, -v3
	v_pack_b32_f16 v2, v2, v3
	ds_write2_b32 v8, v1, v2 offset1:63
	s_waitcnt vmcnt(17)
	v_lshrrev_b32_e32 v1, 16, v14
	s_waitcnt vmcnt(16)
	v_mul_f16_sdwa v2, v57, v1 dst_sel:DWORD dst_unused:UNUSED_PAD src0_sel:WORD_1 src1_sel:DWORD
	v_mul_f16_sdwa v3, v57, v14 dst_sel:DWORD dst_unused:UNUSED_PAD src0_sel:WORD_1 src1_sel:DWORD
	v_fma_f16 v2, v57, v14, v2
	v_fma_f16 v1, v57, v1, -v3
	v_pack_b32_f16 v2, v2, v1
	v_lshl_add_u64 v[4:5], v[10:11], 0, s[2:3]
	s_waitcnt vmcnt(15)
	v_lshrrev_b32_e32 v1, 16, v15
	s_waitcnt vmcnt(14)
	v_mul_f16_sdwa v3, v56, v1 dst_sel:DWORD dst_unused:UNUSED_PAD src0_sel:WORD_1 src1_sel:DWORD
	v_mul_f16_sdwa v5, v56, v15 dst_sel:DWORD dst_unused:UNUSED_PAD src0_sel:WORD_1 src1_sel:DWORD
	v_fma_f16 v3, v56, v15, v3
	v_fma_f16 v1, v56, v1, -v5
	v_pack_b32_f16 v3, v3, v1
	s_waitcnt vmcnt(13)
	v_lshrrev_b32_e32 v1, 16, v16
	s_waitcnt vmcnt(12)
	v_mul_f16_sdwa v5, v55, v1 dst_sel:DWORD dst_unused:UNUSED_PAD src0_sel:WORD_1 src1_sel:DWORD
	v_mul_f16_sdwa v6, v55, v16 dst_sel:DWORD dst_unused:UNUSED_PAD src0_sel:WORD_1 src1_sel:DWORD
	v_fma_f16 v5, v55, v16, v5
	v_fma_f16 v1, v55, v1, -v6
	v_pack_b32_f16 v5, v5, v1
	v_add_u32_e32 v1, 0x400, v8
	ds_write2_b32 v1, v2, v5 offset0:185 offset1:248
	s_waitcnt vmcnt(11)
	v_lshrrev_b32_e32 v2, 16, v17
	s_waitcnt vmcnt(10)
	v_mul_f16_sdwa v5, v54, v2 dst_sel:DWORD dst_unused:UNUSED_PAD src0_sel:WORD_1 src1_sel:DWORD
	v_mul_f16_sdwa v6, v54, v17 dst_sel:DWORD dst_unused:UNUSED_PAD src0_sel:WORD_1 src1_sel:DWORD
	v_fma_f16 v5, v54, v17, v5
	v_fma_f16 v2, v54, v2, -v6
	v_pack_b32_f16 v2, v5, v2
	ds_write2_b32 v8, v3, v2 offset0:126 offset1:189
	s_waitcnt vmcnt(9)
	v_lshrrev_b32_e32 v2, 16, v18
	s_waitcnt vmcnt(8)
	v_mul_f16_sdwa v3, v53, v2 dst_sel:DWORD dst_unused:UNUSED_PAD src0_sel:WORD_1 src1_sel:DWORD
	v_mul_f16_sdwa v5, v53, v18 dst_sel:DWORD dst_unused:UNUSED_PAD src0_sel:WORD_1 src1_sel:DWORD
	v_fma_f16 v3, v53, v18, v3
	v_fma_f16 v2, v53, v2, -v5
	v_pack_b32_f16 v2, v3, v2
	s_waitcnt vmcnt(7)
	v_lshrrev_b32_e32 v3, 16, v19
	s_waitcnt vmcnt(6)
	v_mul_f16_sdwa v5, v52, v3 dst_sel:DWORD dst_unused:UNUSED_PAD src0_sel:WORD_1 src1_sel:DWORD
	v_mul_f16_sdwa v6, v52, v19 dst_sel:DWORD dst_unused:UNUSED_PAD src0_sel:WORD_1 src1_sel:DWORD
	v_fma_f16 v5, v52, v19, v5
	v_fma_f16 v3, v52, v3, -v6
	v_pack_b32_f16 v3, v5, v3
	;; [unrolled: 8-line block ×3, first 2 shown]
	v_add_u32_e32 v7, 0x800, v8
	ds_write2_b32 v7, v2, v5 offset0:55 offset1:118
	s_waitcnt vmcnt(3)
	v_lshrrev_b32_e32 v2, 16, v21
	s_waitcnt vmcnt(2)
	v_mul_f16_sdwa v5, v50, v2 dst_sel:DWORD dst_unused:UNUSED_PAD src0_sel:WORD_1 src1_sel:DWORD
	v_mul_f16_sdwa v6, v50, v21 dst_sel:DWORD dst_unused:UNUSED_PAD src0_sel:WORD_1 src1_sel:DWORD
	v_fma_f16 v5, v50, v21, v5
	v_fma_f16 v2, v50, v2, -v6
	v_pack_b32_f16 v2, v5, v2
	ds_write2_b32 v81, v3, v2 offset0:124 offset1:187
	s_waitcnt vmcnt(1)
	v_lshrrev_b32_e32 v2, 16, v22
	s_waitcnt vmcnt(0)
	v_mul_f16_sdwa v3, v13, v2 dst_sel:DWORD dst_unused:UNUSED_PAD src0_sel:WORD_1 src1_sel:DWORD
	v_mul_f16_sdwa v5, v13, v22 dst_sel:DWORD dst_unused:UNUSED_PAD src0_sel:WORD_1 src1_sel:DWORD
	v_fma_f16 v3, v13, v22, v3
	v_fma_f16 v2, v13, v2, -v5
	v_pack_b32_f16 v2, v3, v2
	ds_write_b32 v8, v2 offset:2772
	s_waitcnt lgkmcnt(0)
	; wave barrier
	s_waitcnt lgkmcnt(0)
	ds_read2_b32 v[14:15], v8 offset1:63
	ds_read2_b32 v[16:17], v1 offset0:122 offset1:185
	ds_read2_b32 v[20:21], v8 offset0:126 offset1:189
	ds_read2_b32 v[22:23], v83 offset0:120 offset1:183
	ds_read2_b32 v[24:25], v81 offset0:124 offset1:187
	ds_read2_b32 v[26:27], v7 offset0:118 offset1:181
	s_mov_b64 s[2:3], 0xbd
	v_lshl_add_u64 v[2:3], v[10:11], 0, s[2:3]
	s_waitcnt lgkmcnt(4)
	v_pk_add_f16 v19, v14, v16 neg_lo:[0,1] neg_hi:[0,1]
	v_pk_add_f16 v17, v15, v17 neg_lo:[0,1] neg_hi:[0,1]
	s_waitcnt lgkmcnt(2)
	v_pk_add_f16 v23, v21, v23 neg_lo:[0,1] neg_hi:[0,1]
	s_waitcnt lgkmcnt(0)
	v_pk_add_f16 v27, v25, v27 neg_lo:[0,1] neg_hi:[0,1]
	v_lshlrev_b32_e32 v3, 1, v10
	v_pk_fma_f16 v18, v14, 2.0, v19 op_sel_hi:[1,0,1] neg_lo:[0,0,1] neg_hi:[0,0,1]
	v_pk_fma_f16 v16, v15, 2.0, v17 op_sel_hi:[1,0,1] neg_lo:[0,0,1] neg_hi:[0,0,1]
	v_pk_add_f16 v15, v20, v22 neg_lo:[0,1] neg_hi:[0,1]
	v_pk_fma_f16 v22, v21, 2.0, v23 op_sel_hi:[1,0,1] neg_lo:[0,0,1] neg_hi:[0,0,1]
	v_pk_add_f16 v21, v24, v26 neg_lo:[0,1] neg_hi:[0,1]
	v_pk_fma_f16 v26, v25, 2.0, v27 op_sel_hi:[1,0,1] neg_lo:[0,0,1] neg_hi:[0,0,1]
	v_lshlrev_b32_e32 v64, 3, v4
	v_pk_fma_f16 v14, v20, 2.0, v15 op_sel_hi:[1,0,1] neg_lo:[0,0,1] neg_hi:[0,0,1]
	v_lshlrev_b32_e32 v65, 3, v2
	v_lshlrev_b32_e32 v5, 2, v3
	v_pk_fma_f16 v20, v24, 2.0, v21 op_sel_hi:[1,0,1] neg_lo:[0,0,1] neg_hi:[0,0,1]
	s_waitcnt lgkmcnt(0)
	; wave barrier
	ds_write_b64 v61, v[18:19]
	ds_write_b64 v63, v[16:17]
	;; [unrolled: 1-line block ×4, first 2 shown]
	ds_write_b64 v5, v[20:21] offset:2016
	ds_write_b64 v61, v[26:27] offset:2520
	v_and_b32_e32 v26, 1, v10
	v_lshlrev_b32_e32 v5, 2, v26
	s_waitcnt lgkmcnt(0)
	; wave barrier
	s_waitcnt lgkmcnt(0)
	global_load_dword v62, v5, s[10:11]
	v_add_u32_e32 v5, 0x13b, v10
	v_and_b32_e32 v28, 1, v5
	v_and_b32_e32 v27, 1, v0
	v_lshlrev_b32_e32 v14, 2, v28
	v_lshlrev_b32_e32 v6, 2, v27
	global_load_ushort v66, v14, s[10:11] offset:2
	global_load_dword v67, v14, s[10:11]
	global_load_ushort v70, v6, s[10:11]
	v_and_b32_e32 v29, 1, v2
	v_lshlrev_b32_e32 v6, 2, v29
	global_load_ushort v69, v6, s[10:11] offset:2
	global_load_ushort v68, v6, s[10:11]
	ds_read2_b32 v[14:15], v8 offset1:63
	ds_read2_b32 v[16:17], v1 offset0:122 offset1:185
	s_movk_i32 s2, 0x7c
	ds_read2_b32 v[18:19], v8 offset0:126 offset1:189
	ds_read2_b32 v[20:21], v83 offset0:120 offset1:183
	;; [unrolled: 1-line block ×3, first 2 shown]
	v_lshlrev_b32_e32 v32, 1, v2
	s_waitcnt lgkmcnt(4)
	v_lshrrev_b32_e32 v6, 16, v14
	s_waitcnt lgkmcnt(3)
	v_lshrrev_b32_e32 v24, 16, v16
	v_and_b32_e32 v35, 3, v4
	v_and_b32_e32 v36, 3, v2
	s_mov_b32 s3, 0xbaee
	s_waitcnt vmcnt(5)
	v_mul_f16_sdwa v25, v24, v62 dst_sel:DWORD dst_unused:UNUSED_PAD src0_sel:DWORD src1_sel:WORD_1
	v_fma_f16 v25, v16, v62, -v25
	v_mul_f16_sdwa v16, v16, v62 dst_sel:DWORD dst_unused:UNUSED_PAD src0_sel:DWORD src1_sel:WORD_1
	v_fma_f16 v16, v24, v62, v16
	v_sub_f16_e32 v31, v14, v25
	v_sub_f16_e32 v16, v6, v16
	v_fma_f16 v14, v14, 2.0, -v31
	v_fma_f16 v6, v6, 2.0, -v16
	v_pack_b32_f16 v6, v14, v6
	v_pack_b32_f16 v14, v31, v16
	v_and_or_b32 v16, v3, s2, v26
	v_lshlrev_b32_e32 v71, 2, v16
	ds_read2_b32 v[24:25], v7 offset0:118 offset1:181
	s_waitcnt lgkmcnt(0)
	; wave barrier
	s_waitcnt lgkmcnt(0)
	ds_write2_b32 v71, v6, v14 offset1:2
	v_lshrrev_b32_e32 v6, 16, v17
	s_waitcnt vmcnt(3)
	v_mul_f16_sdwa v14, v6, v67 dst_sel:DWORD dst_unused:UNUSED_PAD src0_sel:DWORD src1_sel:WORD_1
	v_mul_f16_sdwa v16, v17, v67 dst_sel:DWORD dst_unused:UNUSED_PAD src0_sel:DWORD src1_sel:WORD_1
	s_waitcnt vmcnt(2)
	v_fma_f16 v14, v17, v70, -v14
	v_fma_f16 v16, v6, v70, v16
	v_lshrrev_b32_e32 v31, 16, v15
	v_sub_f16_e32 v14, v15, v14
	s_movk_i32 s2, 0xfc
	v_sub_f16_e32 v16, v31, v16
	v_fma_f16 v15, v15, 2.0, -v14
	v_add_u32_e32 v6, 0x1f8, v3
	v_and_or_b32 v3, v30, s2, v27
	v_fma_f16 v30, v31, 2.0, -v16
	v_pack_b32_f16 v15, v15, v30
	v_lshrrev_b32_e32 v30, 16, v20
	v_pack_b32_f16 v14, v14, v16
	v_lshlrev_b32_e32 v72, 2, v3
	ds_write2_b32 v72, v15, v14 offset1:2
	v_mul_f16_sdwa v3, v30, v62 dst_sel:DWORD dst_unused:UNUSED_PAD src0_sel:DWORD src1_sel:WORD_1
	v_mul_f16_sdwa v14, v20, v62 dst_sel:DWORD dst_unused:UNUSED_PAD src0_sel:DWORD src1_sel:WORD_1
	v_lshrrev_b32_e32 v27, 16, v18
	v_fma_f16 v3, v20, v62, -v3
	v_fma_f16 v14, v30, v62, v14
	v_lshlrev_b32_e32 v17, 1, v4
	v_lshrrev_b32_e32 v16, 16, v21
	s_waitcnt vmcnt(1)
	v_mul_f16_e32 v20, v21, v69
	v_sub_f16_e32 v3, v18, v3
	v_sub_f16_e32 v14, v27, v14
	s_movk_i32 s2, 0x1fc
	v_mul_f16_e32 v15, v16, v69
	s_waitcnt vmcnt(0)
	v_fma_f16 v16, v16, v68, v20
	v_fma_f16 v18, v18, 2.0, -v3
	v_fma_f16 v20, v27, 2.0, -v14
	v_and_or_b32 v17, v17, s2, v26
	v_fma_f16 v15, v21, v68, -v15
	v_lshrrev_b32_e32 v21, 16, v19
	v_pack_b32_f16 v18, v18, v20
	v_lshrrev_b32_e32 v20, 16, v24
	v_pack_b32_f16 v3, v3, v14
	v_lshlrev_b32_e32 v73, 2, v17
	ds_write2_b32 v73, v18, v3 offset1:2
	v_mul_f16_sdwa v3, v20, v62 dst_sel:DWORD dst_unused:UNUSED_PAD src0_sel:DWORD src1_sel:WORD_1
	v_mul_f16_sdwa v17, v24, v62 dst_sel:DWORD dst_unused:UNUSED_PAD src0_sel:DWORD src1_sel:WORD_1
	v_sub_f16_e32 v15, v19, v15
	v_sub_f16_e32 v16, v21, v16
	v_lshrrev_b32_e32 v14, 16, v25
	v_fma_f16 v3, v24, v62, -v3
	v_fma_f16 v17, v20, v62, v17
	v_lshrrev_b32_e32 v24, 16, v22
	v_fma_f16 v19, v19, 2.0, -v15
	v_fma_f16 v21, v21, 2.0, -v16
	v_and_or_b32 v27, v32, s2, v29
	v_mul_f16_e32 v18, v14, v66
	v_mul_f16_e32 v20, v25, v66
	v_sub_f16_e32 v3, v22, v3
	v_sub_f16_e32 v17, v24, v17
	v_lshlrev_b32_e32 v74, 2, v27
	v_pack_b32_f16 v19, v19, v21
	v_pack_b32_f16 v15, v15, v16
	s_movk_i32 s2, 0x3fc
	v_fma_f16 v18, v25, v67, -v18
	v_fma_f16 v14, v14, v67, v20
	v_lshrrev_b32_e32 v20, 16, v23
	v_fma_f16 v22, v22, 2.0, -v3
	v_fma_f16 v24, v24, 2.0, -v17
	ds_write2_b32 v74, v19, v15 offset1:2
	v_and_or_b32 v15, v6, s2, v26
	v_sub_f16_e32 v18, v23, v18
	v_lshlrev_b32_e32 v25, 1, v5
	v_sub_f16_e32 v14, v20, v14
	v_lshlrev_b32_e32 v75, 2, v15
	v_pack_b32_f16 v15, v22, v24
	v_pack_b32_f16 v3, v3, v17
	s_movk_i32 s2, 0x2fc
	v_fma_f16 v23, v23, 2.0, -v18
	v_fma_f16 v20, v20, 2.0, -v14
	ds_write2_b32 v75, v15, v3 offset1:2
	v_and_or_b32 v3, v25, s2, v28
	v_lshlrev_b32_e32 v76, 2, v3
	v_pack_b32_f16 v3, v23, v20
	v_pack_b32_f16 v14, v18, v14
	ds_write2_b32 v76, v3, v14 offset1:2
	v_and_b32_e32 v3, 3, v10
	v_lshlrev_b32_e32 v14, 3, v3
	s_waitcnt lgkmcnt(0)
	; wave barrier
	s_waitcnt lgkmcnt(0)
	global_load_dwordx2 v[14:15], v14, s[10:11] offset:8
	v_lshlrev_b32_e32 v16, 3, v34
	global_load_dwordx2 v[16:17], v16, s[10:11] offset:8
	v_lshlrev_b32_e32 v18, 3, v35
	;; [unrolled: 2-line block ×3, first 2 shown]
	global_load_dwordx2 v[20:21], v20, s[10:11] offset:8
	ds_read2_b32 v[22:23], v81 offset0:124 offset1:187
	ds_read2_b32 v[24:25], v83 offset0:120 offset1:183
	ds_read2_b32 v[26:27], v8 offset1:63
	s_movk_i32 s2, 0x3aee
	s_waitcnt lgkmcnt(2)
	v_lshrrev_b32_e32 v28, 16, v22
	s_waitcnt lgkmcnt(1)
	v_lshrrev_b32_e32 v30, 16, v24
	s_waitcnt lgkmcnt(0)
	v_lshrrev_b32_e32 v32, 16, v26
	s_waitcnt vmcnt(3)
	v_mul_f16_sdwa v29, v22, v14 dst_sel:DWORD dst_unused:UNUSED_PAD src0_sel:DWORD src1_sel:WORD_1
	v_fma_f16 v29, v28, v14, v29
	v_mul_f16_sdwa v31, v24, v15 dst_sel:DWORD dst_unused:UNUSED_PAD src0_sel:DWORD src1_sel:WORD_1
	v_mul_f16_sdwa v28, v28, v14 dst_sel:DWORD dst_unused:UNUSED_PAD src0_sel:DWORD src1_sel:WORD_1
	v_fma_f16 v31, v30, v15, v31
	v_fma_f16 v22, v22, v14, -v28
	v_mul_f16_sdwa v28, v30, v15 dst_sel:DWORD dst_unused:UNUSED_PAD src0_sel:DWORD src1_sel:WORD_1
	v_add_f16_e32 v33, v32, v29
	v_sub_f16_e32 v37, v29, v31
	v_add_f16_e32 v29, v29, v31
	v_fma_f16 v24, v24, v15, -v28
	v_add_f16_e32 v28, v26, v22
	v_fma_f16 v38, v29, -0.5, v32
	v_add_f16_e32 v28, v28, v24
	v_add_f16_e32 v29, v22, v24
	v_sub_f16_e32 v22, v22, v24
	v_lshrrev_b32_e32 v24, 2, v10
	v_add_f16_e32 v33, v33, v31
	v_mul_u32_u24_e32 v24, 12, v24
	v_fma_f16 v26, v29, -0.5, v26
	v_or_b32_e32 v3, v24, v3
	v_pack_b32_f16 v24, v28, v33
	v_fma_f16 v28, v37, s2, v26
	v_fma_f16 v29, v22, s3, v38
	v_pack_b32_f16 v39, v28, v29
	v_lshlrev_b32_e32 v77, 2, v3
	v_lshrrev_b32_e32 v3, 16, v23
	ds_read2_b32 v[28:29], v8 offset0:126 offset1:189
	ds_read2_b32 v[30:31], v1 offset0:122 offset1:185
	;; [unrolled: 1-line block ×3, first 2 shown]
	s_waitcnt lgkmcnt(0)
	; wave barrier
	s_waitcnt lgkmcnt(0)
	ds_write2_b32 v77, v24, v39 offset1:4
	s_waitcnt vmcnt(2)
	v_mul_f16_sdwa v24, v3, v16 dst_sel:DWORD dst_unused:UNUSED_PAD src0_sel:DWORD src1_sel:WORD_1
	v_fma_f16 v24, v23, v16, -v24
	v_mul_f16_sdwa v23, v23, v16 dst_sel:DWORD dst_unused:UNUSED_PAD src0_sel:DWORD src1_sel:WORD_1
	v_fma_f16 v3, v3, v16, v23
	v_lshrrev_b32_e32 v23, 16, v25
	v_mul_f16_sdwa v39, v23, v17 dst_sel:DWORD dst_unused:UNUSED_PAD src0_sel:DWORD src1_sel:WORD_1
	v_fma_f16 v39, v25, v17, -v39
	v_mul_f16_sdwa v25, v25, v17 dst_sel:DWORD dst_unused:UNUSED_PAD src0_sel:DWORD src1_sel:WORD_1
	v_fma_f16 v23, v23, v17, v25
	v_fma_f16 v25, v37, s3, v26
	;; [unrolled: 1-line block ×3, first 2 shown]
	v_lshrrev_b32_e32 v37, 16, v27
	v_pack_b32_f16 v22, v25, v22
	v_add_f16_e32 v26, v24, v39
	v_add_f16_e32 v38, v37, v3
	v_sub_f16_e32 v40, v3, v23
	v_add_f16_e32 v3, v3, v23
	ds_write_b32 v77, v22 offset:32
	v_lshrrev_b32_e32 v22, 2, v0
	v_fma_f16 v26, v26, -0.5, v27
	v_add_f16_e32 v27, v27, v24
	v_fma_f16 v3, v3, -0.5, v37
	v_sub_f16_e32 v24, v24, v39
	v_mul_u32_u24_e32 v22, 12, v22
	v_add_f16_e32 v38, v38, v23
	v_add_f16_e32 v23, v27, v39
	v_or_b32_e32 v22, v22, v34
	v_fma_f16 v25, v40, s2, v26
	v_fma_f16 v27, v24, s3, v3
	v_pack_b32_f16 v23, v23, v38
	v_pack_b32_f16 v25, v25, v27
	v_lshlrev_b32_e32 v78, 2, v22
	ds_write2_b32 v78, v23, v25 offset1:4
	v_fma_f16 v22, v40, s3, v26
	v_fma_f16 v3, v24, s2, v3
	v_lshrrev_b32_e32 v23, 16, v30
	s_waitcnt vmcnt(1)
	v_mul_f16_sdwa v24, v30, v18 dst_sel:DWORD dst_unused:UNUSED_PAD src0_sel:DWORD src1_sel:WORD_1
	v_lshrrev_b32_e32 v25, 16, v32
	v_mul_f16_sdwa v26, v32, v19 dst_sel:DWORD dst_unused:UNUSED_PAD src0_sel:DWORD src1_sel:WORD_1
	v_fma_f16 v24, v23, v18, v24
	v_fma_f16 v26, v25, v19, v26
	v_lshrrev_b32_e32 v27, 16, v28
	v_mul_f16_sdwa v23, v23, v18 dst_sel:DWORD dst_unused:UNUSED_PAD src0_sel:DWORD src1_sel:WORD_1
	v_mul_f16_sdwa v25, v25, v19 dst_sel:DWORD dst_unused:UNUSED_PAD src0_sel:DWORD src1_sel:WORD_1
	v_add_f16_e32 v34, v27, v24
	v_sub_f16_e32 v37, v24, v26
	v_add_f16_e32 v24, v24, v26
	v_fma_f16 v23, v30, v18, -v23
	v_fma_f16 v25, v32, v19, -v25
	v_pack_b32_f16 v3, v22, v3
	v_add_f16_e32 v34, v34, v26
	v_fma_f16 v24, v24, -0.5, v27
	v_add_f16_e32 v26, v28, v23
	v_add_f16_e32 v27, v23, v25
	ds_write_b32 v78, v3 offset:32
	v_lshrrev_b32_e32 v3, 2, v4
	v_add_f16_e32 v26, v26, v25
	v_sub_f16_e32 v23, v23, v25
	v_mul_u32_u24_e32 v3, 12, v3
	v_fma_f16 v25, v27, -0.5, v28
	v_or_b32_e32 v3, v3, v35
	v_pack_b32_f16 v22, v26, v34
	v_fma_f16 v26, v37, s2, v25
	v_fma_f16 v27, v23, s3, v24
	v_pack_b32_f16 v26, v26, v27
	v_lshlrev_b32_e32 v79, 2, v3
	ds_write2_b32 v79, v22, v26 offset1:4
	v_lshrrev_b32_e32 v3, 16, v31
	s_waitcnt vmcnt(0)
	v_mul_f16_sdwa v26, v31, v20 dst_sel:DWORD dst_unused:UNUSED_PAD src0_sel:DWORD src1_sel:WORD_1
	v_mul_f16_sdwa v22, v3, v20 dst_sel:DWORD dst_unused:UNUSED_PAD src0_sel:DWORD src1_sel:WORD_1
	v_fma_f16 v3, v3, v20, v26
	v_lshrrev_b32_e32 v26, 16, v33
	v_fma_f16 v25, v37, s3, v25
	v_fma_f16 v23, v23, s2, v24
	v_mul_f16_sdwa v27, v26, v21 dst_sel:DWORD dst_unused:UNUSED_PAD src0_sel:DWORD src1_sel:WORD_1
	v_mul_f16_sdwa v28, v33, v21 dst_sel:DWORD dst_unused:UNUSED_PAD src0_sel:DWORD src1_sel:WORD_1
	v_pack_b32_f16 v23, v25, v23
	v_fma_f16 v22, v31, v20, -v22
	v_fma_f16 v27, v33, v21, -v27
	v_fma_f16 v26, v26, v21, v28
	v_lshrrev_b32_e32 v28, 16, v29
	ds_write_b32 v79, v23 offset:32
	v_lshrrev_b32_e32 v23, 2, v2
	v_add_f16_e32 v24, v22, v27
	v_add_f16_e32 v30, v28, v3
	v_sub_f16_e32 v31, v3, v26
	v_add_f16_e32 v3, v3, v26
	v_mul_u32_u24_e32 v23, 12, v23
	v_fma_f16 v24, v24, -0.5, v29
	v_add_f16_e32 v29, v29, v22
	v_fma_f16 v3, v3, -0.5, v28
	v_sub_f16_e32 v22, v22, v27
	v_or_b32_e32 v23, v23, v36
	v_add_f16_e32 v30, v30, v26
	v_add_f16_e32 v26, v29, v27
	v_fma_f16 v27, v22, s3, v3
	v_lshlrev_b32_e32 v80, 2, v23
	v_fma_f16 v23, v31, s3, v24
	v_fma_f16 v3, v22, s2, v3
	v_pack_b32_f16 v3, v23, v3
	ds_write_b32 v80, v3 offset:32
	v_mul_lo_u16_sdwa v3, v10, s12 dst_sel:DWORD dst_unused:UNUSED_PAD src0_sel:BYTE_0 src1_sel:DWORD
	v_pack_b32_f16 v25, v26, v30
	v_fma_f16 v26, v31, s2, v24
	v_lshrrev_b16_e32 v3, 11, v3
	v_pack_b32_f16 v26, v26, v27
	v_mul_lo_u16_e32 v22, 12, v3
	ds_write2_b32 v80, v25, v26 offset1:4
	v_sub_u16_e32 v22, v10, v22
	v_mul_lo_u16_sdwa v26, v4, s12 dst_sel:DWORD dst_unused:UNUSED_PAD src0_sel:BYTE_0 src1_sel:DWORD
	v_and_b32_e32 v36, 0xff, v22
	v_lshrrev_b16_e32 v44, 11, v26
	v_lshlrev_b32_e32 v22, 3, v36
	v_mul_lo_u16_e32 v26, 12, v44
	s_waitcnt lgkmcnt(0)
	; wave barrier
	s_waitcnt lgkmcnt(0)
	global_load_dwordx2 v[24:25], v22, s[10:11] offset:40
	v_sub_u16_e32 v26, v4, v26
	v_and_b32_e32 v45, 0xff, v26
	v_lshlrev_b32_e32 v26, 3, v45
	global_load_dwordx2 v[26:27], v26, s[10:11] offset:40
	v_mul_lo_u16_sdwa v22, v0, s12 dst_sel:DWORD dst_unused:UNUSED_PAD src0_sel:BYTE_0 src1_sel:DWORD
	v_lshrrev_b16_e32 v42, 11, v22
	v_mul_lo_u16_e32 v22, 12, v42
	v_sub_u16_e32 v22, v0, v22
	v_and_b32_e32 v43, 0xff, v22
	v_lshlrev_b32_e32 v22, 3, v43
	global_load_dwordx2 v[22:23], v22, s[10:11] offset:40
	v_mul_lo_u16_sdwa v28, v2, s12 dst_sel:DWORD dst_unused:UNUSED_PAD src0_sel:BYTE_0 src1_sel:DWORD
	v_lshrrev_b16_e32 v46, 11, v28
	v_mul_lo_u16_e32 v28, 12, v46
	v_sub_u16_e32 v28, v2, v28
	v_and_b32_e32 v47, 0xff, v28
	v_lshlrev_b32_e32 v28, 3, v47
	global_load_dwordx2 v[28:29], v28, s[10:11] offset:40
	ds_read2_b32 v[30:31], v81 offset0:124 offset1:187
	ds_read2_b32 v[32:33], v83 offset0:120 offset1:183
	ds_read2_b32 v[34:35], v8 offset1:63
	v_mul_lo_u16_e32 v3, 36, v3
	v_and_b32_e32 v3, 0xfc, v3
	s_waitcnt lgkmcnt(2)
	v_lshrrev_b32_e32 v37, 16, v30
	s_waitcnt lgkmcnt(1)
	v_lshrrev_b32_e32 v39, 16, v32
	;; [unrolled: 2-line block ×3, first 2 shown]
	v_add_lshl_u32 v82, v3, v36, 2
	s_movk_i32 s12, 0xffdc
	s_mov_b32 s13, -1
	s_waitcnt vmcnt(3)
	v_mul_f16_sdwa v38, v30, v24 dst_sel:DWORD dst_unused:UNUSED_PAD src0_sel:DWORD src1_sel:WORD_1
	v_fma_f16 v38, v37, v24, v38
	v_mul_f16_sdwa v40, v32, v25 dst_sel:DWORD dst_unused:UNUSED_PAD src0_sel:DWORD src1_sel:WORD_1
	v_mul_f16_sdwa v37, v37, v24 dst_sel:DWORD dst_unused:UNUSED_PAD src0_sel:DWORD src1_sel:WORD_1
	v_fma_f16 v40, v39, v25, v40
	v_fma_f16 v30, v30, v24, -v37
	v_mul_f16_sdwa v37, v39, v25 dst_sel:DWORD dst_unused:UNUSED_PAD src0_sel:DWORD src1_sel:WORD_1
	v_add_f16_e32 v48, v41, v38
	v_sub_f16_e32 v49, v38, v40
	v_add_f16_e32 v38, v38, v40
	v_fma_f16 v32, v32, v25, -v37
	v_fma_f16 v84, v38, -0.5, v41
	v_add_f16_e32 v37, v34, v30
	v_add_f16_e32 v38, v30, v32
	;; [unrolled: 1-line block ×3, first 2 shown]
	v_sub_f16_e32 v30, v30, v32
	v_fma_f16 v32, v38, -0.5, v34
	v_add_f16_e32 v48, v48, v40
	v_fma_f16 v34, v49, s2, v32
	v_fma_f16 v36, v30, s3, v84
	v_pack_b32_f16 v3, v37, v48
	v_pack_b32_f16 v34, v34, v36
	ds_read2_b32 v[36:37], v8 offset0:126 offset1:189
	ds_read2_b32 v[38:39], v1 offset0:122 offset1:185
	;; [unrolled: 1-line block ×3, first 2 shown]
	s_waitcnt lgkmcnt(0)
	; wave barrier
	s_waitcnt lgkmcnt(0)
	ds_write2_b32 v82, v3, v34 offset1:12
	v_lshrrev_b32_e32 v3, 16, v31
	s_waitcnt vmcnt(1)
	v_mul_f16_sdwa v34, v3, v22 dst_sel:DWORD dst_unused:UNUSED_PAD src0_sel:DWORD src1_sel:WORD_1
	v_fma_f16 v34, v31, v22, -v34
	v_mul_f16_sdwa v31, v31, v22 dst_sel:DWORD dst_unused:UNUSED_PAD src0_sel:DWORD src1_sel:WORD_1
	v_fma_f16 v3, v3, v22, v31
	v_lshrrev_b32_e32 v31, 16, v33
	v_mul_f16_sdwa v48, v31, v23 dst_sel:DWORD dst_unused:UNUSED_PAD src0_sel:DWORD src1_sel:WORD_1
	v_fma_f16 v48, v33, v23, -v48
	v_mul_f16_sdwa v33, v33, v23 dst_sel:DWORD dst_unused:UNUSED_PAD src0_sel:DWORD src1_sel:WORD_1
	v_fma_f16 v31, v31, v23, v33
	v_fma_f16 v32, v49, s3, v32
	;; [unrolled: 1-line block ×3, first 2 shown]
	v_add_f16_e32 v33, v34, v48
	v_lshrrev_b32_e32 v49, 16, v35
	v_fma_f16 v33, v33, -0.5, v35
	v_add_f16_e32 v35, v35, v34
	v_add_f16_e32 v84, v49, v3
	v_sub_f16_e32 v86, v3, v31
	v_add_f16_e32 v3, v3, v31
	v_pack_b32_f16 v30, v32, v30
	v_add_f16_e32 v85, v84, v31
	v_fma_f16 v3, v3, -0.5, v49
	v_add_f16_e32 v31, v35, v48
	v_sub_f16_e32 v34, v34, v48
	ds_write_b32 v82, v30 offset:96
	v_mul_u32_u24_e32 v30, 36, v42
	v_add_lshl_u32 v84, v30, v43, 2
	v_pack_b32_f16 v30, v31, v85
	v_fma_f16 v31, v86, s2, v33
	v_fma_f16 v32, v34, s3, v3
	v_pack_b32_f16 v31, v31, v32
	ds_write2_b32 v84, v30, v31 offset1:12
	v_fma_f16 v30, v86, s3, v33
	v_fma_f16 v3, v34, s2, v3
	v_lshrrev_b32_e32 v31, 16, v38
	v_mul_f16_sdwa v32, v38, v26 dst_sel:DWORD dst_unused:UNUSED_PAD src0_sel:DWORD src1_sel:WORD_1
	v_lshrrev_b32_e32 v33, 16, v40
	v_mul_f16_sdwa v34, v40, v27 dst_sel:DWORD dst_unused:UNUSED_PAD src0_sel:DWORD src1_sel:WORD_1
	v_fma_f16 v32, v31, v26, v32
	v_fma_f16 v34, v33, v27, v34
	v_lshrrev_b32_e32 v35, 16, v36
	v_mul_f16_sdwa v31, v31, v26 dst_sel:DWORD dst_unused:UNUSED_PAD src0_sel:DWORD src1_sel:WORD_1
	v_mul_f16_sdwa v33, v33, v27 dst_sel:DWORD dst_unused:UNUSED_PAD src0_sel:DWORD src1_sel:WORD_1
	v_add_f16_e32 v42, v35, v32
	v_sub_f16_e32 v43, v32, v34
	v_add_f16_e32 v32, v32, v34
	v_fma_f16 v31, v38, v26, -v31
	v_fma_f16 v33, v40, v27, -v33
	v_add_f16_e32 v42, v42, v34
	v_fma_f16 v32, v32, -0.5, v35
	v_add_f16_e32 v34, v36, v31
	v_add_f16_e32 v35, v31, v33
	v_pack_b32_f16 v3, v30, v3
	v_add_f16_e32 v34, v34, v33
	v_sub_f16_e32 v31, v31, v33
	ds_write_b32 v84, v3 offset:96
	v_mul_u32_u24_e32 v3, 36, v44
	v_fma_f16 v30, v35, -0.5, v36
	v_add_lshl_u32 v85, v3, v45, 2
	v_pack_b32_f16 v3, v34, v42
	v_fma_f16 v33, v43, s2, v30
	v_fma_f16 v34, v31, s3, v32
	v_pack_b32_f16 v33, v33, v34
	ds_write2_b32 v85, v3, v33 offset1:12
	v_lshrrev_b32_e32 v3, 16, v39
	s_waitcnt vmcnt(0)
	v_mul_f16_sdwa v34, v39, v28 dst_sel:DWORD dst_unused:UNUSED_PAD src0_sel:DWORD src1_sel:WORD_1
	v_mul_f16_sdwa v33, v3, v28 dst_sel:DWORD dst_unused:UNUSED_PAD src0_sel:DWORD src1_sel:WORD_1
	v_fma_f16 v3, v3, v28, v34
	v_lshrrev_b32_e32 v34, 16, v41
	v_mul_f16_sdwa v35, v34, v29 dst_sel:DWORD dst_unused:UNUSED_PAD src0_sel:DWORD src1_sel:WORD_1
	v_fma_f16 v33, v39, v28, -v33
	v_fma_f16 v35, v41, v29, -v35
	v_mul_f16_sdwa v36, v41, v29 dst_sel:DWORD dst_unused:UNUSED_PAD src0_sel:DWORD src1_sel:WORD_1
	v_fma_f16 v34, v34, v29, v36
	v_fma_f16 v30, v43, s3, v30
	;; [unrolled: 1-line block ×3, first 2 shown]
	v_add_f16_e32 v32, v33, v35
	v_lshrrev_b32_e32 v36, 16, v37
	v_fma_f16 v32, v32, -0.5, v37
	v_add_f16_e32 v37, v37, v33
	v_add_f16_e32 v38, v36, v3
	v_sub_f16_e32 v39, v3, v34
	v_add_f16_e32 v3, v3, v34
	v_pack_b32_f16 v30, v30, v31
	v_add_f16_e32 v38, v38, v34
	v_fma_f16 v3, v3, -0.5, v36
	v_add_f16_e32 v34, v37, v35
	v_sub_f16_e32 v33, v33, v35
	ds_write_b32 v85, v30 offset:96
	v_mul_u32_u24_e32 v30, 36, v46
	v_add_lshl_u32 v86, v30, v47, 2
	v_pack_b32_f16 v30, v34, v38
	v_fma_f16 v31, v39, s2, v32
	v_fma_f16 v34, v33, s3, v3
	v_pack_b32_f16 v31, v31, v34
	v_mov_b32_e32 v34, 57
	ds_write2_b32 v86, v30, v31 offset1:12
	v_mul_lo_u16_sdwa v30, v4, v34 dst_sel:DWORD dst_unused:UNUSED_PAD src0_sel:BYTE_0 src1_sel:DWORD
	v_lshrrev_b16_e32 v88, 11, v30
	v_mul_lo_u16_e32 v30, 36, v88
	v_sub_u16_e32 v4, v4, v30
	v_fma_f16 v30, v39, s3, v32
	v_fma_f16 v3, v33, s2, v3
	v_pack_b32_f16 v3, v30, v3
	v_and_b32_e32 v4, 0xff, v4
	ds_write_b32 v86, v3 offset:96
	v_lshlrev_b32_e32 v3, 3, v4
	s_waitcnt lgkmcnt(0)
	; wave barrier
	s_waitcnt lgkmcnt(0)
	global_load_dwordx2 v[30:31], v3, s[10:11] offset:136
	v_lshl_add_u64 v[32:33], v[10:11], 0, s[12:13]
	v_cndmask_b32_e64 v37, v33, 0, vcc
	v_cndmask_b32_e32 v36, v32, v10, vcc
	v_lshl_add_u64 v[32:33], v[36:37], 3, s[10:11]
	global_load_dwordx2 v[32:33], v[32:33], off offset:136
	v_mul_lo_u16_sdwa v3, v2, v34 dst_sel:DWORD dst_unused:UNUSED_PAD src0_sel:BYTE_0 src1_sel:DWORD
	v_lshrrev_b16_e32 v89, 11, v3
	v_mul_lo_u16_e32 v3, 36, v89
	v_sub_u16_e32 v2, v2, v3
	v_and_b32_e32 v90, 0xff, v2
	v_mul_lo_u16_sdwa v2, v0, v34 dst_sel:DWORD dst_unused:UNUSED_PAD src0_sel:BYTE_0 src1_sel:DWORD
	v_lshrrev_b16_e32 v87, 11, v2
	v_mul_lo_u16_e32 v2, 36, v87
	v_sub_u16_e32 v2, v0, v2
	v_and_b32_e32 v91, 0xff, v2
	v_lshlrev_b32_e32 v3, 3, v90
	v_lshlrev_b32_e32 v2, 3, v91
	global_load_dwordx2 v[34:35], v3, s[10:11] offset:136
	global_load_dwordx2 v[38:39], v2, s[10:11] offset:136
	ds_read2_b32 v[2:3], v1 offset0:122 offset1:185
	ds_read2_b32 v[40:41], v7 offset0:118 offset1:181
	;; [unrolled: 1-line block ×3, first 2 shown]
	v_cmp_lt_u16_e32 vcc, 35, v10
	ds_read2_b32 v[46:47], v81 offset0:124 offset1:187
	s_waitcnt lgkmcnt(3)
	v_lshrrev_b32_e32 v11, 16, v2
	ds_read2_b32 v[48:49], v8 offset1:63
	s_waitcnt lgkmcnt(1)
	v_lshrrev_b32_e32 v93, 16, v46
	s_waitcnt lgkmcnt(0)
	v_lshrrev_b32_e32 v97, 16, v48
	s_waitcnt vmcnt(3)
	v_mul_f16_sdwa v7, v2, v30 dst_sel:DWORD dst_unused:UNUSED_PAD src0_sel:DWORD src1_sel:WORD_1
	v_fma_f16 v7, v11, v30, v7
	v_mul_f16_sdwa v11, v11, v30 dst_sel:DWORD dst_unused:UNUSED_PAD src0_sel:DWORD src1_sel:WORD_1
	v_fma_f16 v2, v2, v30, -v11
	v_lshrrev_b32_e32 v11, 16, v40
	v_mul_f16_sdwa v37, v40, v31 dst_sel:DWORD dst_unused:UNUSED_PAD src0_sel:DWORD src1_sel:WORD_1
	v_fma_f16 v92, v11, v31, v37
	v_mul_f16_sdwa v11, v11, v31 dst_sel:DWORD dst_unused:UNUSED_PAD src0_sel:DWORD src1_sel:WORD_1
	v_fma_f16 v40, v40, v31, -v11
	v_add_f16_e32 v11, v2, v40
	v_fma_f16 v11, v11, -0.5, v44
	v_sub_f16_e32 v37, v7, v92
	v_fma_f16 v42, v37, s2, v11
	v_fma_f16 v43, v37, s3, v11
	v_mov_b32_e32 v11, 0x6c
	v_cndmask_b32_e32 v11, 0, v11, vcc
	v_add_lshl_u32 v11, v36, v11, 2
	ds_read2_b32 v[36:37], v83 offset0:120 offset1:183
	s_waitcnt vmcnt(2)
	v_mul_f16_sdwa v94, v46, v32 dst_sel:DWORD dst_unused:UNUSED_PAD src0_sel:DWORD src1_sel:WORD_1
	v_fma_f16 v94, v93, v32, v94
	v_mul_f16_sdwa v93, v93, v32 dst_sel:DWORD dst_unused:UNUSED_PAD src0_sel:DWORD src1_sel:WORD_1
	v_fma_f16 v46, v46, v32, -v93
	s_waitcnt lgkmcnt(0)
	v_lshrrev_b32_e32 v95, 16, v36
	v_mul_f16_sdwa v96, v36, v33 dst_sel:DWORD dst_unused:UNUSED_PAD src0_sel:DWORD src1_sel:WORD_1
	v_mul_f16_sdwa v93, v95, v33 dst_sel:DWORD dst_unused:UNUSED_PAD src0_sel:DWORD src1_sel:WORD_1
	v_fma_f16 v96, v95, v33, v96
	v_fma_f16 v36, v36, v33, -v93
	v_add_f16_e32 v98, v97, v94
	v_sub_f16_e32 v99, v94, v96
	v_add_f16_e32 v94, v94, v96
	v_add_f16_e32 v93, v48, v46
	;; [unrolled: 1-line block ×4, first 2 shown]
	v_fma_f16 v94, v94, -0.5, v97
	v_add_f16_e32 v93, v93, v36
	v_sub_f16_e32 v36, v46, v36
	v_fma_f16 v48, v95, -0.5, v48
	v_pack_b32_f16 v46, v93, v98
	v_fma_f16 v93, v99, s2, v48
	v_fma_f16 v95, v36, s3, v94
	v_pack_b32_f16 v93, v93, v95
	s_waitcnt lgkmcnt(0)
	; wave barrier
	ds_write2_b32 v11, v46, v93 offset1:36
	v_lshrrev_b32_e32 v46, 16, v47
	s_waitcnt vmcnt(0)
	v_mul_f16_sdwa v93, v46, v38 dst_sel:DWORD dst_unused:UNUSED_PAD src0_sel:DWORD src1_sel:WORD_1
	v_fma_f16 v93, v47, v38, -v93
	v_mul_f16_sdwa v47, v47, v38 dst_sel:DWORD dst_unused:UNUSED_PAD src0_sel:DWORD src1_sel:WORD_1
	v_fma_f16 v46, v46, v38, v47
	v_lshrrev_b32_e32 v47, 16, v37
	v_mul_f16_sdwa v95, v47, v39 dst_sel:DWORD dst_unused:UNUSED_PAD src0_sel:DWORD src1_sel:WORD_1
	v_fma_f16 v95, v37, v39, -v95
	v_mul_f16_sdwa v37, v37, v39 dst_sel:DWORD dst_unused:UNUSED_PAD src0_sel:DWORD src1_sel:WORD_1
	v_fma_f16 v36, v36, s2, v94
	v_lshrrev_b32_e32 v94, 16, v49
	v_fma_f16 v37, v47, v39, v37
	v_fma_f16 v47, v99, s3, v48
	v_add_f16_e32 v48, v93, v95
	v_add_f16_e32 v96, v94, v46
	v_fma_f16 v48, v48, -0.5, v49
	v_add_f16_e32 v49, v49, v93
	v_add_f16_e32 v96, v96, v37
	v_sub_f16_e32 v97, v46, v37
	v_add_f16_e32 v37, v46, v37
	v_pack_b32_f16 v36, v47, v36
	v_fma_f16 v37, v37, -0.5, v94
	v_add_f16_e32 v46, v49, v95
	v_sub_f16_e32 v49, v93, v95
	ds_write_b32 v11, v36 offset:288
	v_mul_u32_u24_e32 v36, 0x6c, v87
	v_add_lshl_u32 v87, v36, v91, 2
	v_pack_b32_f16 v36, v46, v96
	v_fma_f16 v46, v97, s2, v48
	v_fma_f16 v47, v49, s3, v37
	v_pack_b32_f16 v46, v46, v47
	ds_write2_b32 v87, v36, v46 offset1:36
	v_lshrrev_b32_e32 v46, 16, v44
	v_fma_f16 v36, v97, s3, v48
	v_fma_f16 v37, v49, s2, v37
	v_add_f16_e32 v47, v46, v7
	v_add_f16_e32 v7, v7, v92
	v_fma_f16 v7, v7, -0.5, v46
	v_add_f16_e32 v44, v44, v2
	v_sub_f16_e32 v2, v2, v40
	v_pack_b32_f16 v36, v36, v37
	v_add_f16_e32 v47, v47, v92
	v_add_f16_e32 v44, v44, v40
	ds_write_b32 v87, v36 offset:288
	v_mul_u32_u24_e32 v36, 0x6c, v88
	v_fma_f16 v92, v2, s3, v7
	v_add_lshl_u32 v88, v36, v4, 2
	v_pack_b32_f16 v4, v44, v47
	v_pack_b32_f16 v36, v42, v92
	ds_write2_b32 v88, v4, v36 offset1:36
	v_lshrrev_b32_e32 v4, 16, v3
	v_mul_f16_sdwa v36, v4, v34 dst_sel:DWORD dst_unused:UNUSED_PAD src0_sel:DWORD src1_sel:WORD_1
	v_fma_f16 v36, v3, v34, -v36
	v_mul_f16_sdwa v3, v3, v34 dst_sel:DWORD dst_unused:UNUSED_PAD src0_sel:DWORD src1_sel:WORD_1
	v_fma_f16 v3, v4, v34, v3
	v_lshrrev_b32_e32 v4, 16, v41
	v_mul_f16_sdwa v37, v4, v35 dst_sel:DWORD dst_unused:UNUSED_PAD src0_sel:DWORD src1_sel:WORD_1
	v_mul_f16_sdwa v40, v41, v35 dst_sel:DWORD dst_unused:UNUSED_PAD src0_sel:DWORD src1_sel:WORD_1
	v_fma_f16 v93, v2, s2, v7
	v_lshrrev_b32_e32 v7, 16, v45
	v_fma_f16 v37, v41, v35, -v37
	v_fma_f16 v4, v4, v35, v40
	v_add_f16_e32 v41, v7, v3
	v_add_f16_e32 v94, v41, v4
	v_sub_f16_e32 v41, v3, v4
	v_add_f16_e32 v3, v3, v4
	v_pack_b32_f16 v4, v43, v93
	v_add_f16_e32 v2, v36, v37
	ds_write_b32 v88, v4 offset:288
	v_mul_u32_u24_e32 v4, 0x6c, v89
	v_fma_f16 v2, v2, -0.5, v45
	v_add_f16_e32 v40, v45, v36
	v_fma_f16 v3, v3, -0.5, v7
	v_add_lshl_u32 v89, v4, v90, 2
	v_sub_f16_e32 v4, v36, v37
	v_add_f16_e32 v36, v40, v37
	v_fma_f16 v37, v41, s2, v2
	v_fma_f16 v95, v4, s3, v3
	;; [unrolled: 1-line block ×4, first 2 shown]
	v_pack_b32_f16 v7, v36, v94
	v_pack_b32_f16 v40, v37, v95
	;; [unrolled: 1-line block ×3, first 2 shown]
	ds_write2_b32 v89, v7, v40 offset1:36
	ds_write_b32 v89, v2 offset:288
	s_waitcnt lgkmcnt(0)
	; wave barrier
	s_waitcnt lgkmcnt(0)
	ds_read_b32 v100, v8 offset:2592
	ds_read2_b32 v[46:47], v8 offset1:108
	ds_read2_b32 v[40:41], v81 offset0:88 offset1:196
	ds_read2_b32 v[2:3], v83 offset0:48 offset1:156
	v_cmp_gt_u16_e32 vcc, 45, v10
                                        ; implicit-def: $vgpr98
                                        ; implicit-def: $vgpr96
                                        ; implicit-def: $vgpr99
	s_and_saveexec_b64 s[2:3], vcc
	s_cbranch_execz .LBB0_3
; %bb.2:
	ds_read2_b32 v[42:43], v8 offset0:63 offset1:171
	ds_read2_b32 v[36:37], v1 offset0:23 offset1:131
	;; [unrolled: 1-line block ×3, first 2 shown]
	ds_read_b32 v96, v8 offset:2844
	s_waitcnt lgkmcnt(3)
	v_lshrrev_b32_e32 v92, 16, v42
	v_lshrrev_b32_e32 v93, 16, v43
	s_waitcnt lgkmcnt(2)
	v_lshrrev_b32_e32 v94, 16, v36
	v_lshrrev_b32_e32 v95, 16, v37
	s_waitcnt lgkmcnt(1)
	v_lshrrev_b32_e32 v97, 16, v48
	v_lshrrev_b32_e32 v98, 16, v49
	s_waitcnt lgkmcnt(0)
	v_lshrrev_b32_e32 v99, 16, v96
.LBB0_3:
	s_or_b64 exec, exec, s[2:3]
	v_mad_u64_u32 v[102:103], s[2:3], v10, 24, s[10:11]
	v_lshlrev_b32_e32 v91, 2, v6
	v_lshlrev_b32_e32 v90, 3, v5
	global_load_dwordx4 v[4:7], v[102:103], off offset:424
	s_waitcnt lgkmcnt(2)
	v_lshrrev_b32_e32 v1, 16, v47
	v_lshl_add_u64 v[44:45], s[8:9], 0, v[8:9]
	s_waitcnt lgkmcnt(1)
	v_lshrrev_b32_e32 v9, 16, v40
	v_lshrrev_b32_e32 v101, 16, v41
	s_waitcnt lgkmcnt(0)
	v_lshrrev_b32_e32 v104, 16, v2
	v_lshrrev_b32_e32 v105, 16, v3
	;; [unrolled: 1-line block ×3, first 2 shown]
	s_movk_i32 s3, 0x3b00
	s_movk_i32 s2, 0x2b26
	;; [unrolled: 1-line block ×4, first 2 shown]
	s_waitcnt vmcnt(0)
	v_mul_f16_sdwa v107, v1, v4 dst_sel:DWORD dst_unused:UNUSED_PAD src0_sel:DWORD src1_sel:WORD_1
	v_fma_f16 v107, v47, v4, -v107
	v_mul_f16_sdwa v47, v47, v4 dst_sel:DWORD dst_unused:UNUSED_PAD src0_sel:DWORD src1_sel:WORD_1
	v_fma_f16 v47, v1, v4, v47
	v_mul_f16_sdwa v1, v9, v5 dst_sel:DWORD dst_unused:UNUSED_PAD src0_sel:DWORD src1_sel:WORD_1
	v_fma_f16 v108, v40, v5, -v1
	v_mul_f16_sdwa v1, v40, v5 dst_sel:DWORD dst_unused:UNUSED_PAD src0_sel:DWORD src1_sel:WORD_1
	v_fma_f16 v9, v9, v5, v1
	v_mul_f16_sdwa v1, v101, v6 dst_sel:DWORD dst_unused:UNUSED_PAD src0_sel:DWORD src1_sel:WORD_1
	v_fma_f16 v109, v41, v6, -v1
	v_mul_f16_sdwa v1, v41, v6 dst_sel:DWORD dst_unused:UNUSED_PAD src0_sel:DWORD src1_sel:WORD_1
	global_load_dwordx2 v[40:41], v[102:103], off offset:440
	v_fma_f16 v110, v101, v6, v1
	v_mul_f16_sdwa v1, v104, v7 dst_sel:DWORD dst_unused:UNUSED_PAD src0_sel:DWORD src1_sel:WORD_1
	v_fma_f16 v111, v2, v7, -v1
	v_mul_f16_sdwa v1, v2, v7 dst_sel:DWORD dst_unused:UNUSED_PAD src0_sel:DWORD src1_sel:WORD_1
	v_fma_f16 v104, v104, v7, v1
	s_waitcnt vmcnt(0)
	v_mul_f16_sdwa v1, v105, v40 dst_sel:DWORD dst_unused:UNUSED_PAD src0_sel:DWORD src1_sel:WORD_1
	v_fma_f16 v102, v3, v40, -v1
	v_mul_f16_sdwa v1, v3, v40 dst_sel:DWORD dst_unused:UNUSED_PAD src0_sel:DWORD src1_sel:WORD_1
	v_fma_f16 v103, v105, v40, v1
	v_mul_f16_sdwa v1, v106, v41 dst_sel:DWORD dst_unused:UNUSED_PAD src0_sel:DWORD src1_sel:WORD_1
	v_fma_f16 v105, v100, v41, -v1
	v_mul_f16_sdwa v1, v100, v41 dst_sel:DWORD dst_unused:UNUSED_PAD src0_sel:DWORD src1_sel:WORD_1
	v_fma_f16 v106, v106, v41, v1
	v_subrev_u32_e32 v1, 45, v10
	v_cndmask_b32_e32 v0, v1, v0, vcc
	v_mul_hi_i32_i24_e32 v1, 24, v0
	v_mul_i32_i24_e32 v0, 24, v0
	v_lshl_add_u64 v[100:101], s[10:11], 0, v[0:1]
	global_load_dwordx4 v[0:3], v[100:101], off offset:424
	s_movk_i32 s11, 0x39e0
	s_mov_b32 s10, 0xbcab
	s_waitcnt vmcnt(0)
	v_mul_f16_sdwa v112, v93, v0 dst_sel:DWORD dst_unused:UNUSED_PAD src0_sel:DWORD src1_sel:WORD_1
	v_fma_f16 v112, v43, v0, -v112
	v_mul_f16_sdwa v43, v43, v0 dst_sel:DWORD dst_unused:UNUSED_PAD src0_sel:DWORD src1_sel:WORD_1
	v_fma_f16 v43, v93, v0, v43
	v_mul_f16_sdwa v93, v94, v1 dst_sel:DWORD dst_unused:UNUSED_PAD src0_sel:DWORD src1_sel:WORD_1
	v_fma_f16 v93, v36, v1, -v93
	v_mul_f16_sdwa v36, v36, v1 dst_sel:DWORD dst_unused:UNUSED_PAD src0_sel:DWORD src1_sel:WORD_1
	v_fma_f16 v94, v94, v1, v36
	v_mul_f16_sdwa v36, v95, v2 dst_sel:DWORD dst_unused:UNUSED_PAD src0_sel:DWORD src1_sel:WORD_1
	v_fma_f16 v113, v37, v2, -v36
	v_mul_f16_sdwa v36, v37, v2 dst_sel:DWORD dst_unused:UNUSED_PAD src0_sel:DWORD src1_sel:WORD_1
	v_fma_f16 v95, v95, v2, v36
	v_mul_f16_sdwa v36, v97, v3 dst_sel:DWORD dst_unused:UNUSED_PAD src0_sel:DWORD src1_sel:WORD_1
	v_fma_f16 v114, v48, v3, -v36
	v_mul_f16_sdwa v36, v48, v3 dst_sel:DWORD dst_unused:UNUSED_PAD src0_sel:DWORD src1_sel:WORD_1
	v_fma_f16 v48, v97, v3, v36
	global_load_dwordx2 v[36:37], v[100:101], off offset:440
	v_add_f16_e32 v100, v47, v106
	v_sub_f16_e32 v101, v107, v105
	v_sub_f16_e32 v47, v47, v106
	v_add_f16_e32 v106, v9, v103
	v_sub_f16_e32 v9, v9, v103
	v_add_f16_e32 v103, v109, v111
	v_sub_f16_e32 v115, v106, v100
	s_waitcnt vmcnt(0)
	v_mul_f16_sdwa v97, v98, v36 dst_sel:DWORD dst_unused:UNUSED_PAD src0_sel:DWORD src1_sel:WORD_1
	v_fma_f16 v97, v49, v36, -v97
	v_mul_f16_sdwa v49, v49, v36 dst_sel:DWORD dst_unused:UNUSED_PAD src0_sel:DWORD src1_sel:WORD_1
	v_fma_f16 v49, v98, v36, v49
	v_mul_f16_sdwa v98, v99, v37 dst_sel:DWORD dst_unused:UNUSED_PAD src0_sel:DWORD src1_sel:WORD_1
	v_fma_f16 v98, v96, v37, -v98
	v_mul_f16_sdwa v96, v96, v37 dst_sel:DWORD dst_unused:UNUSED_PAD src0_sel:DWORD src1_sel:WORD_1
	v_fma_f16 v96, v99, v37, v96
	v_add_f16_e32 v99, v107, v105
	v_add_f16_e32 v105, v108, v102
	v_sub_f16_e32 v102, v108, v102
	v_add_f16_e32 v107, v110, v104
	v_sub_f16_e32 v108, v111, v109
	v_sub_f16_e32 v104, v104, v110
	v_add_f16_e32 v109, v105, v99
	v_add_f16_e32 v110, v106, v100
	v_sub_f16_e32 v111, v105, v99
	v_sub_f16_e32 v99, v99, v103
	;; [unrolled: 1-line block ×5, first 2 shown]
	v_add_f16_e32 v116, v108, v102
	v_add_f16_e32 v117, v104, v9
	v_sub_f16_e32 v118, v108, v102
	v_sub_f16_e32 v119, v104, v9
	v_add_f16_e32 v103, v103, v109
	v_add_f16_e32 v107, v107, v110
	v_sub_f16_e32 v108, v101, v108
	v_sub_f16_e32 v104, v47, v104
	;; [unrolled: 1-line block ×4, first 2 shown]
	v_add_f16_e32 v101, v116, v101
	v_add_f16_e32 v47, v117, v47
	;; [unrolled: 1-line block ×3, first 2 shown]
	v_add_f16_sdwa v117, v46, v107 dst_sel:DWORD dst_unused:UNUSED_PAD src0_sel:WORD_1 src1_sel:DWORD
	v_mul_f16_e32 v46, 0x3a52, v99
	v_mul_f16_e32 v99, 0x3a52, v100
	;; [unrolled: 1-line block ×8, first 2 shown]
	v_fma_f16 v100, v111, s11, -v100
	v_fma_f16 v109, v115, s11, -v109
	s_mov_b32 s11, 0xb9e0
	v_fma_f16 v102, v102, s3, -v110
	v_fma_f16 v9, v9, s3, -v118
	s_mov_b32 s3, 0xb574
	v_fma_f16 v103, v103, s10, v116
	v_fma_f16 v107, v107, s10, v117
	;; [unrolled: 1-line block ×4, first 2 shown]
	v_fma_f16 v46, v111, s11, -v46
	v_fma_f16 v99, v115, s11, -v99
	v_fma_f16 v115, v104, s12, v118
	v_fma_f16 v104, v104, s3, -v120
	v_fma_f16 v111, v108, s12, v110
	v_fma_f16 v108, v108, s3, -v119
	v_add_f16_e32 v106, v106, v107
	v_add_f16_e32 v100, v100, v103
	;; [unrolled: 1-line block ×5, first 2 shown]
	v_fma_f16 v107, v47, s13, v115
	v_fma_f16 v9, v47, s13, v9
	;; [unrolled: 1-line block ×3, first 2 shown]
	v_add_f16_e32 v105, v105, v103
	v_fma_f16 v103, v101, s13, v111
	v_fma_f16 v102, v101, s13, v102
	;; [unrolled: 1-line block ×3, first 2 shown]
	v_add_f16_e32 v118, v47, v46
	v_sub_f16_e32 v120, v100, v9
	v_add_f16_e32 v122, v9, v100
	v_sub_f16_e32 v124, v46, v47
	v_add_f16_e32 v9, v112, v98
	v_add_f16_e32 v46, v43, v96
	v_sub_f16_e32 v47, v112, v98
	v_add_f16_e32 v98, v94, v49
	v_sub_f16_e32 v119, v99, v101
	;; [unrolled: 2-line block ×5, first 2 shown]
	v_sub_f16_e32 v99, v94, v49
	v_add_f16_e32 v100, v113, v114
	v_add_f16_e32 v101, v95, v48
	v_sub_f16_e32 v102, v114, v113
	v_sub_f16_e32 v48, v48, v95
	v_add_f16_e32 v104, v98, v46
	v_add_f16_e32 v111, v107, v105
	v_sub_f16_e32 v115, v106, v103
	;; [unrolled: 4-line block ×3, first 2 shown]
	v_sub_f16_e32 v93, v98, v46
	v_sub_f16_e32 v46, v46, v101
	;; [unrolled: 1-line block ×4, first 2 shown]
	v_add_f16_e32 v96, v102, v97
	v_sub_f16_e32 v105, v102, v97
	v_sub_f16_e32 v106, v48, v99
	;; [unrolled: 1-line block ×5, first 2 shown]
	v_add_f16_e32 v101, v101, v104
	v_sub_f16_e32 v9, v9, v100
	v_add_f16_e32 v98, v48, v99
	v_sub_f16_e32 v108, v43, v48
	v_add_f16_e32 v103, v100, v103
	v_add_f16_e32 v48, v92, v101
	v_mul_f16_e32 v92, 0xb846, v106
	v_mul_f16_e32 v102, 0x3b00, v102
	;; [unrolled: 1-line block ×3, first 2 shown]
	v_add_f16_e32 v97, v96, v47
	v_add_f16_e32 v98, v98, v43
	v_mul_f16_e32 v99, 0xb846, v105
	v_fma_f16 v109, v108, s12, v92
	v_fma_f16 v110, v107, s3, -v102
	v_fma_f16 v112, v108, s3, -v100
	v_add_f16_e32 v42, v42, v103
	v_mul_f16_e32 v9, 0x3a52, v9
	v_mul_f16_e32 v43, 0x3a52, v46
	v_fma_f16 v106, v107, s12, v99
	v_fma_f16 v107, v98, s13, v109
	;; [unrolled: 1-line block ×4, first 2 shown]
	v_pack_b32_f16 v112, v116, v117
	v_pack_b32_f16 v111, v111, v115
	v_fma_f16 v96, v103, s10, v42
	v_fma_f16 v105, v101, s10, v48
	;; [unrolled: 1-line block ×4, first 2 shown]
	v_fma_f16 v9, v49, s11, -v9
	v_fma_f16 v43, v93, s11, -v43
	ds_write2_b32 v8, v112, v111 offset1:108
	v_pack_b32_f16 v111, v118, v119
	v_pack_b32_f16 v112, v120, v121
	v_add_f16_e32 v101, v46, v96
	v_add_f16_e32 v103, v47, v105
	;; [unrolled: 1-line block ×4, first 2 shown]
	v_fma_f16 v106, v97, s13, v106
	ds_write2_b32 v81, v111, v112 offset0:88 offset1:196
	v_pack_b32_f16 v81, v122, v123
	v_pack_b32_f16 v111, v124, v125
	v_sub_f16_e32 v43, v104, v110
	v_add_f16_e32 v9, v109, v108
	v_sub_f16_e32 v46, v101, v107
	v_add_f16_e32 v47, v106, v103
	ds_write2_b32 v83, v81, v111 offset0:48 offset1:156
	v_pack_b32_f16 v81, v126, v127
	ds_write_b32 v8, v81 offset:2592
	s_and_saveexec_b64 s[2:3], vcc
	s_cbranch_execz .LBB0_5
; %bb.4:
	v_mul_f16_e32 v81, 0x2b26, v94
	v_mul_f16_e32 v83, 0x2b26, v95
	;; [unrolled: 1-line block ×6, first 2 shown]
	v_sub_f16_e32 v83, v93, v83
	v_sub_f16_e32 v93, v102, v99
	;; [unrolled: 1-line block ×4, first 2 shown]
	v_add_f16_e32 v83, v83, v105
	v_add_f16_e32 v93, v94, v93
	v_add_f16_e32 v92, v95, v92
	v_add_f16_e32 v49, v49, v96
	v_sub_f16_e32 v95, v103, v106
	v_add_f16_e32 v96, v107, v101
	s_mov_b32 s10, 0x5040100
	v_sub_f16_e32 v94, v83, v93
	v_add_f16_e32 v81, v92, v49
	v_add_f16_e32 v83, v93, v83
	v_sub_f16_e32 v49, v49, v92
	v_sub_f16_e32 v92, v108, v109
	v_add_f16_e32 v93, v110, v104
	v_perm_b32 v42, v48, v42, s10
	v_pack_b32_f16 v48, v96, v95
	ds_write2_b32 v8, v42, v48 offset0:63 offset1:171
	v_pack_b32_f16 v42, v93, v92
	v_pack_b32_f16 v48, v49, v83
	v_add_u32_e32 v49, 0x400, v8
	ds_write2_b32 v49, v42, v48 offset0:23 offset1:131
	v_pack_b32_f16 v42, v81, v94
	v_perm_b32 v48, v9, v43, s10
	v_add_u32_e32 v49, 0x600, v8
	ds_write2_b32 v49, v42, v48 offset0:111 offset1:219
	v_perm_b32 v42, v47, v46, s10
	ds_write_b32 v8, v42 offset:2844
.LBB0_5:
	s_or_b64 exec, exec, s[2:3]
	s_waitcnt lgkmcnt(0)
	; wave barrier
	s_waitcnt lgkmcnt(0)
	global_load_dword v44, v[44:45], off offset:3024
	s_add_u32 s2, s8, 0xbd0
	s_addc_u32 s3, s9, 0
	v_lshlrev_b32_e32 v81, 2, v10
	global_load_dword v83, v81, s[2:3] offset:1512
	ds_read2_b32 v[48:49], v8 offset1:63
	global_load_dword v93, v81, s[2:3] offset:504
	s_waitcnt lgkmcnt(0)
	v_lshrrev_b32_e32 v42, 16, v48
	s_waitcnt vmcnt(2)
	v_mul_f16_sdwa v45, v42, v44 dst_sel:DWORD dst_unused:UNUSED_PAD src0_sel:DWORD src1_sel:WORD_1
	v_fma_f16 v45, v48, v44, -v45
	v_mul_f16_sdwa v48, v48, v44 dst_sel:DWORD dst_unused:UNUSED_PAD src0_sel:DWORD src1_sel:WORD_1
	v_fma_f16 v42, v42, v44, v48
	v_pack_b32_f16 v42, v45, v42
	ds_write_b32 v8, v42
	v_add_u32_e32 v48, 0x400, v8
	ds_read2_b32 v[44:45], v48 offset0:122 offset1:185
	s_waitcnt lgkmcnt(0)
	v_lshrrev_b32_e32 v42, 16, v44
	s_waitcnt vmcnt(1)
	v_mul_f16_sdwa v92, v42, v83 dst_sel:DWORD dst_unused:UNUSED_PAD src0_sel:DWORD src1_sel:WORD_1
	v_fma_f16 v92, v44, v83, -v92
	v_mul_f16_sdwa v44, v44, v83 dst_sel:DWORD dst_unused:UNUSED_PAD src0_sel:DWORD src1_sel:WORD_1
	v_fma_f16 v42, v42, v83, v44
	global_load_dword v44, v81, s[2:3] offset:252
	v_pack_b32_f16 v83, v92, v42
	v_lshrrev_b32_e32 v42, 16, v49
	s_waitcnt vmcnt(0)
	v_mul_f16_sdwa v92, v42, v44 dst_sel:DWORD dst_unused:UNUSED_PAD src0_sel:DWORD src1_sel:WORD_1
	v_fma_f16 v92, v49, v44, -v92
	v_mul_f16_sdwa v49, v49, v44 dst_sel:DWORD dst_unused:UNUSED_PAD src0_sel:DWORD src1_sel:WORD_1
	v_fma_f16 v42, v42, v44, v49
	global_load_dword v49, v81, s[2:3] offset:1764
	v_lshrrev_b32_e32 v44, 16, v45
	v_pack_b32_f16 v42, v92, v42
	s_waitcnt vmcnt(0)
	v_mul_f16_sdwa v92, v44, v49 dst_sel:DWORD dst_unused:UNUSED_PAD src0_sel:DWORD src1_sel:WORD_1
	v_fma_f16 v92, v45, v49, -v92
	v_mul_f16_sdwa v45, v45, v49 dst_sel:DWORD dst_unused:UNUSED_PAD src0_sel:DWORD src1_sel:WORD_1
	v_fma_f16 v44, v44, v49, v45
	v_pack_b32_f16 v49, v92, v44
	ds_read2_b32 v[44:45], v8 offset0:126 offset1:189
	s_waitcnt lgkmcnt(0)
	v_lshrrev_b32_e32 v92, 16, v44
	v_mul_f16_sdwa v94, v92, v93 dst_sel:DWORD dst_unused:UNUSED_PAD src0_sel:DWORD src1_sel:WORD_1
	v_fma_f16 v94, v44, v93, -v94
	v_mul_f16_sdwa v44, v44, v93 dst_sel:DWORD dst_unused:UNUSED_PAD src0_sel:DWORD src1_sel:WORD_1
	v_fma_f16 v44, v92, v93, v44
	v_pack_b32_f16 v44, v94, v44
	global_load_dword v94, v81, s[2:3] offset:2016
	ds_write2_b32 v8, v42, v44 offset0:63 offset1:126
	v_add_u32_e32 v44, 0x600, v8
	ds_read2_b32 v[92:93], v44 offset0:120 offset1:183
	s_waitcnt lgkmcnt(0)
	v_lshrrev_b32_e32 v42, 16, v92
	s_waitcnt vmcnt(0)
	v_mul_f16_sdwa v95, v42, v94 dst_sel:DWORD dst_unused:UNUSED_PAD src0_sel:DWORD src1_sel:WORD_1
	v_fma_f16 v95, v92, v94, -v95
	v_mul_f16_sdwa v92, v92, v94 dst_sel:DWORD dst_unused:UNUSED_PAD src0_sel:DWORD src1_sel:WORD_1
	v_fma_f16 v42, v42, v94, v92
	v_pack_b32_f16 v42, v95, v42
	ds_write2_b32 v48, v49, v42 offset0:185 offset1:248
	global_load_dword v49, v81, s[2:3] offset:756
	global_load_dword v95, v81, s[2:3] offset:1008
	v_lshrrev_b32_e32 v42, 16, v45
	s_waitcnt vmcnt(1)
	v_mul_f16_sdwa v92, v42, v49 dst_sel:DWORD dst_unused:UNUSED_PAD src0_sel:DWORD src1_sel:WORD_1
	v_fma_f16 v92, v45, v49, -v92
	v_mul_f16_sdwa v45, v45, v49 dst_sel:DWORD dst_unused:UNUSED_PAD src0_sel:DWORD src1_sel:WORD_1
	v_fma_f16 v42, v42, v49, v45
	global_load_dword v49, v81, s[2:3] offset:2268
	v_lshrrev_b32_e32 v45, 16, v93
	v_pack_b32_f16 v42, v92, v42
	s_waitcnt vmcnt(0)
	v_mul_f16_sdwa v92, v45, v49 dst_sel:DWORD dst_unused:UNUSED_PAD src0_sel:DWORD src1_sel:WORD_1
	v_fma_f16 v92, v93, v49, -v92
	v_mul_f16_sdwa v93, v93, v49 dst_sel:DWORD dst_unused:UNUSED_PAD src0_sel:DWORD src1_sel:WORD_1
	v_fma_f16 v45, v45, v49, v93
	v_pack_b32_f16 v49, v92, v45
	v_add_u32_e32 v45, 0x200, v8
	ds_read2_b32 v[92:93], v45 offset0:124 offset1:187
	s_waitcnt lgkmcnt(0)
	v_lshrrev_b32_e32 v94, 16, v92
	v_mul_f16_sdwa v96, v94, v95 dst_sel:DWORD dst_unused:UNUSED_PAD src0_sel:DWORD src1_sel:WORD_1
	v_fma_f16 v96, v92, v95, -v96
	v_mul_f16_sdwa v92, v92, v95 dst_sel:DWORD dst_unused:UNUSED_PAD src0_sel:DWORD src1_sel:WORD_1
	v_fma_f16 v92, v94, v95, v92
	v_pack_b32_f16 v92, v96, v92
	global_load_dword v96, v81, s[2:3] offset:2520
	ds_write2_b32 v8, v42, v92 offset0:189 offset1:252
	v_add_u32_e32 v42, 0x800, v8
	ds_read2_b32 v[94:95], v42 offset0:118 offset1:181
	s_waitcnt lgkmcnt(0)
	v_lshrrev_b32_e32 v92, 16, v94
	s_waitcnt vmcnt(0)
	v_mul_f16_sdwa v97, v92, v96 dst_sel:DWORD dst_unused:UNUSED_PAD src0_sel:DWORD src1_sel:WORD_1
	v_fma_f16 v97, v94, v96, -v97
	v_mul_f16_sdwa v94, v94, v96 dst_sel:DWORD dst_unused:UNUSED_PAD src0_sel:DWORD src1_sel:WORD_1
	v_fma_f16 v92, v92, v96, v94
	v_pack_b32_f16 v92, v97, v92
	ds_write2_b32 v42, v49, v92 offset0:55 offset1:118
	global_load_dword v92, v81, s[2:3] offset:1260
	v_lshrrev_b32_e32 v49, 16, v93
	global_load_dword v81, v81, s[2:3] offset:2772
	s_mov_b32 s2, 0xbaee
	s_movk_i32 s3, 0x3aee
	s_waitcnt vmcnt(1)
	v_mul_f16_sdwa v94, v49, v92 dst_sel:DWORD dst_unused:UNUSED_PAD src0_sel:DWORD src1_sel:WORD_1
	v_fma_f16 v94, v93, v92, -v94
	v_mul_f16_sdwa v93, v93, v92 dst_sel:DWORD dst_unused:UNUSED_PAD src0_sel:DWORD src1_sel:WORD_1
	v_fma_f16 v49, v49, v92, v93
	v_pack_b32_f16 v49, v94, v49
	ds_write2_b32 v48, v49, v83 offset0:59 offset1:122
	v_lshrrev_b32_e32 v49, 16, v95
	s_waitcnt vmcnt(0)
	v_mul_f16_sdwa v83, v49, v81 dst_sel:DWORD dst_unused:UNUSED_PAD src0_sel:DWORD src1_sel:WORD_1
	v_mul_f16_sdwa v92, v95, v81 dst_sel:DWORD dst_unused:UNUSED_PAD src0_sel:DWORD src1_sel:WORD_1
	v_fma_f16 v83, v95, v81, -v83
	v_fma_f16 v49, v49, v81, v92
	v_pack_b32_f16 v49, v83, v49
	ds_write_b32 v8, v49 offset:2772
	s_waitcnt lgkmcnt(0)
	; wave barrier
	s_waitcnt lgkmcnt(0)
	ds_read2_b32 v[92:93], v8 offset1:63
	ds_read2_b32 v[94:95], v48 offset0:122 offset1:185
	s_waitcnt lgkmcnt(0)
	v_pk_add_f16 v97, v92, v94 neg_lo:[0,1] neg_hi:[0,1]
	v_pk_add_f16 v95, v93, v95 neg_lo:[0,1] neg_hi:[0,1]
	v_pk_fma_f16 v96, v92, 2.0, v97 op_sel_hi:[1,0,1] neg_lo:[0,0,1] neg_hi:[0,0,1]
	v_pk_fma_f16 v94, v93, 2.0, v95 op_sel_hi:[1,0,1] neg_lo:[0,0,1] neg_hi:[0,0,1]
	ds_read2_b32 v[92:93], v8 offset0:126 offset1:189
	ds_read2_b32 v[98:99], v44 offset0:120 offset1:183
	s_waitcnt lgkmcnt(0)
	v_pk_add_f16 v101, v92, v98 neg_lo:[0,1] neg_hi:[0,1]
	v_pk_add_f16 v99, v93, v99 neg_lo:[0,1] neg_hi:[0,1]
	v_pk_fma_f16 v100, v92, 2.0, v101 op_sel_hi:[1,0,1] neg_lo:[0,0,1] neg_hi:[0,0,1]
	v_pk_fma_f16 v98, v93, 2.0, v99 op_sel_hi:[1,0,1] neg_lo:[0,0,1] neg_hi:[0,0,1]
	ds_read2_b32 v[92:93], v45 offset0:124 offset1:187
	ds_read2_b32 v[102:103], v42 offset0:118 offset1:181
	s_waitcnt lgkmcnt(0)
	; wave barrier
	s_waitcnt lgkmcnt(0)
	v_pk_add_f16 v105, v92, v102 neg_lo:[0,1] neg_hi:[0,1]
	v_pk_add_f16 v103, v93, v103 neg_lo:[0,1] neg_hi:[0,1]
	v_pk_fma_f16 v104, v92, 2.0, v105 op_sel_hi:[1,0,1] neg_lo:[0,0,1] neg_hi:[0,0,1]
	v_pk_fma_f16 v102, v93, 2.0, v103 op_sel_hi:[1,0,1] neg_lo:[0,0,1] neg_hi:[0,0,1]
	ds_write_b64 v61, v[96:97]
	ds_write_b64 v63, v[94:95]
	;; [unrolled: 1-line block ×6, first 2 shown]
	s_waitcnt lgkmcnt(0)
	; wave barrier
	s_waitcnt lgkmcnt(0)
	ds_read2_b32 v[90:91], v48 offset0:122 offset1:185
	ds_read2_b32 v[94:95], v44 offset0:120 offset1:183
	;; [unrolled: 1-line block ×3, first 2 shown]
	ds_read2_b32 v[64:65], v8 offset1:63
	ds_read2_b32 v[92:93], v8 offset0:126 offset1:189
	s_waitcnt lgkmcnt(4)
	v_lshrrev_b32_e32 v61, 16, v90
	v_mul_f16_sdwa v107, v62, v61 dst_sel:DWORD dst_unused:UNUSED_PAD src0_sel:WORD_1 src1_sel:DWORD
	v_lshrrev_b32_e32 v81, 16, v91
	v_fma_f16 v107, v62, v90, v107
	v_mul_f16_sdwa v90, v62, v90 dst_sel:DWORD dst_unused:UNUSED_PAD src0_sel:WORD_1 src1_sel:DWORD
	v_fma_f16 v61, v62, v61, -v90
	v_mul_f16_sdwa v90, v67, v81 dst_sel:DWORD dst_unused:UNUSED_PAD src0_sel:WORD_1 src1_sel:DWORD
	s_waitcnt lgkmcnt(3)
	v_lshrrev_b32_e32 v100, 16, v94
	v_fma_f16 v90, v70, v91, v90
	v_mul_f16_sdwa v91, v67, v91 dst_sel:DWORD dst_unused:UNUSED_PAD src0_sel:WORD_1 src1_sel:DWORD
	v_lshrrev_b32_e32 v102, 16, v95
	v_fma_f16 v70, v70, v81, -v91
	v_mul_f16_sdwa v81, v62, v100 dst_sel:DWORD dst_unused:UNUSED_PAD src0_sel:WORD_1 src1_sel:DWORD
	s_waitcnt lgkmcnt(2)
	v_lshrrev_b32_e32 v104, 16, v98
	v_fma_f16 v81, v62, v94, v81
	v_mul_f16_sdwa v91, v62, v94 dst_sel:DWORD dst_unused:UNUSED_PAD src0_sel:WORD_1 src1_sel:DWORD
	v_mul_f16_e32 v94, v69, v102
	v_mul_f16_e32 v69, v69, v95
	ds_read2_b32 v[96:97], v45 offset0:124 offset1:187
	v_lshrrev_b32_e32 v106, 16, v99
	v_fma_f16 v94, v68, v95, v94
	v_fma_f16 v68, v68, v102, -v69
	v_mul_f16_sdwa v69, v62, v104 dst_sel:DWORD dst_unused:UNUSED_PAD src0_sel:WORD_1 src1_sel:DWORD
	v_mul_f16_sdwa v95, v62, v98 dst_sel:DWORD dst_unused:UNUSED_PAD src0_sel:WORD_1 src1_sel:DWORD
	s_waitcnt lgkmcnt(2)
	v_lshrrev_b32_e32 v49, 16, v64
	v_fma_f16 v91, v62, v100, -v91
	v_fma_f16 v69, v62, v98, v69
	v_fma_f16 v62, v62, v104, -v95
	v_mul_f16_e32 v95, v66, v106
	v_mul_f16_e32 v66, v66, v99
	v_lshrrev_b32_e32 v63, 16, v65
	v_fma_f16 v95, v67, v99, v95
	v_fma_f16 v66, v67, v106, -v66
	v_sub_f16_e32 v67, v64, v107
	v_sub_f16_e32 v61, v49, v61
	s_waitcnt lgkmcnt(1)
	v_lshrrev_b32_e32 v83, 16, v92
	v_fma_f16 v64, v64, 2.0, -v67
	v_fma_f16 v49, v49, 2.0, -v61
	v_sub_f16_e32 v90, v65, v90
	v_sub_f16_e32 v70, v63, v70
	v_lshrrev_b32_e32 v101, 16, v93
	v_fma_f16 v65, v65, 2.0, -v90
	v_fma_f16 v63, v63, 2.0, -v70
	v_sub_f16_e32 v81, v92, v81
	v_sub_f16_e32 v91, v83, v91
	v_pack_b32_f16 v49, v64, v49
	v_pack_b32_f16 v61, v67, v61
	s_waitcnt lgkmcnt(0)
	v_lshrrev_b32_e32 v103, 16, v96
	v_fma_f16 v92, v92, 2.0, -v81
	v_fma_f16 v83, v83, 2.0, -v91
	v_sub_f16_e32 v94, v93, v94
	v_sub_f16_e32 v68, v101, v68
	s_waitcnt lgkmcnt(0)
	; wave barrier
	ds_write2_b32 v71, v49, v61 offset1:2
	v_pack_b32_f16 v49, v65, v63
	v_pack_b32_f16 v61, v90, v70
	v_lshrrev_b32_e32 v105, 16, v97
	v_fma_f16 v93, v93, 2.0, -v94
	v_fma_f16 v98, v101, 2.0, -v68
	v_sub_f16_e32 v69, v96, v69
	v_sub_f16_e32 v62, v103, v62
	ds_write2_b32 v72, v49, v61 offset1:2
	v_pack_b32_f16 v49, v92, v83
	v_pack_b32_f16 v61, v81, v91
	v_fma_f16 v96, v96, 2.0, -v69
	v_fma_f16 v99, v103, 2.0, -v62
	v_sub_f16_e32 v95, v97, v95
	v_sub_f16_e32 v66, v105, v66
	ds_write2_b32 v73, v49, v61 offset1:2
	v_pack_b32_f16 v49, v93, v98
	v_pack_b32_f16 v61, v94, v68
	v_fma_f16 v97, v97, 2.0, -v95
	v_fma_f16 v100, v105, 2.0, -v66
	ds_write2_b32 v74, v49, v61 offset1:2
	v_pack_b32_f16 v49, v96, v99
	v_pack_b32_f16 v61, v69, v62
	ds_write2_b32 v75, v49, v61 offset1:2
	v_pack_b32_f16 v49, v97, v100
	v_pack_b32_f16 v61, v95, v66
	ds_write2_b32 v76, v49, v61 offset1:2
	s_waitcnt lgkmcnt(0)
	; wave barrier
	s_waitcnt lgkmcnt(0)
	ds_read2_b32 v[64:65], v45 offset0:124 offset1:187
	ds_read2_b32 v[66:67], v44 offset0:120 offset1:183
	;; [unrolled: 1-line block ×4, first 2 shown]
	ds_read2_b32 v[62:63], v8 offset1:63
	s_waitcnt lgkmcnt(4)
	v_lshrrev_b32_e32 v61, 16, v64
	v_mul_f16_sdwa v95, v14, v61 dst_sel:DWORD dst_unused:UNUSED_PAD src0_sel:WORD_1 src1_sel:DWORD
	s_waitcnt lgkmcnt(3)
	v_lshrrev_b32_e32 v74, 16, v66
	v_fma_f16 v95, v14, v64, v95
	v_mul_f16_sdwa v64, v14, v64 dst_sel:DWORD dst_unused:UNUSED_PAD src0_sel:WORD_1 src1_sel:DWORD
	v_lshrrev_b32_e32 v76, 16, v65
	v_fma_f16 v14, v14, v61, -v64
	v_mul_f16_sdwa v61, v15, v74 dst_sel:DWORD dst_unused:UNUSED_PAD src0_sel:WORD_1 src1_sel:DWORD
	v_mul_f16_sdwa v64, v15, v66 dst_sel:DWORD dst_unused:UNUSED_PAD src0_sel:WORD_1 src1_sel:DWORD
	v_fma_f16 v61, v15, v66, v61
	v_fma_f16 v15, v15, v74, -v64
	v_mul_f16_sdwa v64, v16, v76 dst_sel:DWORD dst_unused:UNUSED_PAD src0_sel:WORD_1 src1_sel:DWORD
	v_lshrrev_b32_e32 v81, 16, v67
	v_fma_f16 v64, v16, v65, v64
	v_mul_f16_sdwa v65, v16, v65 dst_sel:DWORD dst_unused:UNUSED_PAD src0_sel:WORD_1 src1_sel:DWORD
	s_waitcnt lgkmcnt(2)
	v_lshrrev_b32_e32 v90, 16, v70
	v_fma_f16 v16, v16, v76, -v65
	v_mul_f16_sdwa v65, v17, v81 dst_sel:DWORD dst_unused:UNUSED_PAD src0_sel:WORD_1 src1_sel:DWORD
	v_mul_f16_sdwa v66, v17, v67 dst_sel:DWORD dst_unused:UNUSED_PAD src0_sel:WORD_1 src1_sel:DWORD
	s_waitcnt lgkmcnt(1)
	v_lshrrev_b32_e32 v91, 16, v72
	v_fma_f16 v65, v17, v67, v65
	v_fma_f16 v17, v17, v81, -v66
	v_mul_f16_sdwa v66, v18, v90 dst_sel:DWORD dst_unused:UNUSED_PAD src0_sel:WORD_1 src1_sel:DWORD
	v_mul_f16_sdwa v67, v18, v70 dst_sel:DWORD dst_unused:UNUSED_PAD src0_sel:WORD_1 src1_sel:DWORD
	v_lshrrev_b32_e32 v93, 16, v71
	v_fma_f16 v66, v18, v70, v66
	v_fma_f16 v18, v18, v90, -v67
	v_mul_f16_sdwa v67, v19, v91 dst_sel:DWORD dst_unused:UNUSED_PAD src0_sel:WORD_1 src1_sel:DWORD
	v_mul_f16_sdwa v70, v19, v72 dst_sel:DWORD dst_unused:UNUSED_PAD src0_sel:WORD_1 src1_sel:DWORD
	v_fma_f16 v67, v19, v72, v67
	v_fma_f16 v19, v19, v91, -v70
	v_mul_f16_sdwa v70, v20, v93 dst_sel:DWORD dst_unused:UNUSED_PAD src0_sel:WORD_1 src1_sel:DWORD
	v_lshrrev_b32_e32 v94, 16, v73
	v_fma_f16 v70, v20, v71, v70
	v_mul_f16_sdwa v71, v20, v71 dst_sel:DWORD dst_unused:UNUSED_PAD src0_sel:WORD_1 src1_sel:DWORD
	v_fma_f16 v20, v20, v93, -v71
	v_mul_f16_sdwa v71, v21, v94 dst_sel:DWORD dst_unused:UNUSED_PAD src0_sel:WORD_1 src1_sel:DWORD
	v_fma_f16 v71, v21, v73, v71
	v_mul_f16_sdwa v72, v21, v73 dst_sel:DWORD dst_unused:UNUSED_PAD src0_sel:WORD_1 src1_sel:DWORD
	v_add_f16_e32 v73, v95, v61
	s_waitcnt lgkmcnt(0)
	v_lshrrev_b32_e32 v49, 16, v62
	v_fma_f16 v21, v21, v94, -v72
	v_add_f16_e32 v72, v62, v95
	v_fma_f16 v62, v73, -0.5, v62
	v_sub_f16_e32 v73, v14, v15
	ds_read2_b32 v[68:69], v8 offset0:126 offset1:189
	v_fma_f16 v74, v73, s2, v62
	v_fma_f16 v62, v73, s3, v62
	v_add_f16_e32 v73, v49, v14
	v_add_f16_e32 v14, v14, v15
	v_add_f16_e32 v72, v72, v61
	v_add_f16_e32 v73, v73, v15
	v_fma_f16 v14, v14, -0.5, v49
	v_sub_f16_e32 v15, v95, v61
	v_add_f16_e32 v61, v64, v65
	v_lshrrev_b32_e32 v75, 16, v63
	v_fma_f16 v49, v15, s3, v14
	v_fma_f16 v14, v15, s2, v14
	v_add_f16_e32 v15, v63, v64
	v_fma_f16 v61, v61, -0.5, v63
	v_sub_f16_e32 v63, v16, v17
	v_fma_f16 v76, v63, s2, v61
	v_fma_f16 v61, v63, s3, v61
	v_add_f16_e32 v63, v75, v16
	v_add_f16_e32 v16, v16, v17
	;; [unrolled: 1-line block ×4, first 2 shown]
	v_fma_f16 v16, v16, -0.5, v75
	v_sub_f16_e32 v17, v64, v65
	v_add_f16_e32 v65, v66, v67
	s_waitcnt lgkmcnt(0)
	v_lshrrev_b32_e32 v83, 16, v68
	v_fma_f16 v64, v17, s3, v16
	v_fma_f16 v16, v17, s2, v16
	v_add_f16_e32 v17, v68, v66
	v_fma_f16 v65, v65, -0.5, v68
	v_sub_f16_e32 v68, v18, v19
	v_fma_f16 v75, v68, s2, v65
	v_fma_f16 v65, v68, s3, v65
	v_add_f16_e32 v68, v83, v18
	v_add_f16_e32 v18, v18, v19
	;; [unrolled: 1-line block ×4, first 2 shown]
	v_fma_f16 v18, v18, -0.5, v83
	v_sub_f16_e32 v19, v66, v67
	v_add_f16_e32 v67, v70, v71
	v_lshrrev_b32_e32 v92, 16, v69
	v_fma_f16 v66, v19, s3, v18
	v_fma_f16 v18, v19, s2, v18
	v_add_f16_e32 v19, v69, v70
	v_fma_f16 v67, v67, -0.5, v69
	v_sub_f16_e32 v69, v20, v21
	v_fma_f16 v81, v69, s2, v67
	v_fma_f16 v67, v69, s3, v67
	v_add_f16_e32 v69, v92, v20
	v_add_f16_e32 v20, v20, v21
	;; [unrolled: 1-line block ×3, first 2 shown]
	v_fma_f16 v20, v20, -0.5, v92
	v_sub_f16_e32 v21, v70, v71
	v_pack_b32_f16 v14, v62, v14
	v_fma_f16 v70, v21, s3, v20
	v_fma_f16 v20, v21, s2, v20
	s_waitcnt lgkmcnt(0)
	; wave barrier
	v_pack_b32_f16 v21, v72, v73
	v_pack_b32_f16 v49, v74, v49
	ds_write_b32 v77, v14 offset:32
	v_pack_b32_f16 v14, v15, v63
	v_pack_b32_f16 v15, v76, v64
	ds_write2_b32 v77, v21, v49 offset1:4
	ds_write2_b32 v78, v14, v15 offset1:4
	v_pack_b32_f16 v14, v61, v16
	ds_write_b32 v78, v14 offset:32
	v_pack_b32_f16 v14, v17, v68
	v_pack_b32_f16 v15, v75, v66
	v_add_f16_e32 v19, v19, v71
	ds_write2_b32 v79, v14, v15 offset1:4
	v_pack_b32_f16 v14, v65, v18
	ds_write_b32 v79, v14 offset:32
	v_pack_b32_f16 v14, v19, v69
	v_pack_b32_f16 v15, v81, v70
	ds_write2_b32 v80, v14, v15 offset1:4
	v_pack_b32_f16 v14, v67, v20
	ds_write_b32 v80, v14 offset:32
	s_waitcnt lgkmcnt(0)
	; wave barrier
	s_waitcnt lgkmcnt(0)
	ds_read2_b32 v[16:17], v45 offset0:124 offset1:187
	ds_read2_b32 v[18:19], v44 offset0:120 offset1:183
	;; [unrolled: 1-line block ×4, first 2 shown]
	ds_read2_b32 v[14:15], v8 offset1:63
	s_waitcnt lgkmcnt(4)
	v_lshrrev_b32_e32 v61, 16, v16
	v_mul_f16_sdwa v76, v24, v61 dst_sel:DWORD dst_unused:UNUSED_PAD src0_sel:WORD_1 src1_sel:DWORD
	s_waitcnt lgkmcnt(3)
	v_lshrrev_b32_e32 v66, 16, v18
	v_fma_f16 v76, v24, v16, v76
	v_mul_f16_sdwa v16, v24, v16 dst_sel:DWORD dst_unused:UNUSED_PAD src0_sel:WORD_1 src1_sel:DWORD
	v_fma_f16 v16, v24, v61, -v16
	v_mul_f16_sdwa v24, v25, v66 dst_sel:DWORD dst_unused:UNUSED_PAD src0_sel:WORD_1 src1_sel:DWORD
	v_lshrrev_b32_e32 v68, 16, v17
	v_fma_f16 v24, v25, v18, v24
	v_mul_f16_sdwa v18, v25, v18 dst_sel:DWORD dst_unused:UNUSED_PAD src0_sel:WORD_1 src1_sel:DWORD
	v_fma_f16 v18, v25, v66, -v18
	v_mul_f16_sdwa v25, v22, v68 dst_sel:DWORD dst_unused:UNUSED_PAD src0_sel:WORD_1 src1_sel:DWORD
	v_lshrrev_b32_e32 v69, 16, v19
	v_fma_f16 v25, v22, v17, v25
	v_mul_f16_sdwa v17, v22, v17 dst_sel:DWORD dst_unused:UNUSED_PAD src0_sel:WORD_1 src1_sel:DWORD
	v_fma_f16 v17, v22, v68, -v17
	v_mul_f16_sdwa v22, v23, v69 dst_sel:DWORD dst_unused:UNUSED_PAD src0_sel:WORD_1 src1_sel:DWORD
	s_waitcnt lgkmcnt(2)
	v_lshrrev_b32_e32 v71, 16, v62
	v_fma_f16 v22, v23, v19, v22
	v_mul_f16_sdwa v19, v23, v19 dst_sel:DWORD dst_unused:UNUSED_PAD src0_sel:WORD_1 src1_sel:DWORD
	s_waitcnt lgkmcnt(1)
	v_lshrrev_b32_e32 v72, 16, v64
	v_fma_f16 v19, v23, v69, -v19
	v_mul_f16_sdwa v23, v26, v71 dst_sel:DWORD dst_unused:UNUSED_PAD src0_sel:WORD_1 src1_sel:DWORD
	v_mul_f16_sdwa v61, v26, v62 dst_sel:DWORD dst_unused:UNUSED_PAD src0_sel:WORD_1 src1_sel:DWORD
	v_lshrrev_b32_e32 v74, 16, v63
	v_fma_f16 v23, v26, v62, v23
	v_fma_f16 v26, v26, v71, -v61
	v_mul_f16_sdwa v61, v27, v72 dst_sel:DWORD dst_unused:UNUSED_PAD src0_sel:WORD_1 src1_sel:DWORD
	v_mul_f16_sdwa v62, v27, v64 dst_sel:DWORD dst_unused:UNUSED_PAD src0_sel:WORD_1 src1_sel:DWORD
	v_fma_f16 v61, v27, v64, v61
	v_fma_f16 v27, v27, v72, -v62
	v_mul_f16_sdwa v62, v28, v74 dst_sel:DWORD dst_unused:UNUSED_PAD src0_sel:WORD_1 src1_sel:DWORD
	v_lshrrev_b32_e32 v75, 16, v65
	v_fma_f16 v62, v28, v63, v62
	v_mul_f16_sdwa v63, v28, v63 dst_sel:DWORD dst_unused:UNUSED_PAD src0_sel:WORD_1 src1_sel:DWORD
	v_fma_f16 v28, v28, v74, -v63
	v_mul_f16_sdwa v63, v29, v75 dst_sel:DWORD dst_unused:UNUSED_PAD src0_sel:WORD_1 src1_sel:DWORD
	v_fma_f16 v63, v29, v65, v63
	v_mul_f16_sdwa v64, v29, v65 dst_sel:DWORD dst_unused:UNUSED_PAD src0_sel:WORD_1 src1_sel:DWORD
	v_add_f16_e32 v65, v76, v24
	s_waitcnt lgkmcnt(0)
	v_lshrrev_b32_e32 v49, 16, v14
	v_fma_f16 v29, v29, v75, -v64
	v_add_f16_e32 v64, v14, v76
	v_fma_f16 v14, v65, -0.5, v14
	v_sub_f16_e32 v65, v16, v18
	ds_read2_b32 v[20:21], v8 offset0:126 offset1:189
	v_fma_f16 v66, v65, s2, v14
	v_fma_f16 v14, v65, s3, v14
	v_add_f16_e32 v65, v49, v16
	v_add_f16_e32 v16, v16, v18
	;; [unrolled: 1-line block ×3, first 2 shown]
	v_fma_f16 v16, v16, -0.5, v49
	v_sub_f16_e32 v18, v76, v24
	v_add_f16_e32 v49, v25, v22
	v_lshrrev_b32_e32 v67, 16, v15
	v_add_f16_e32 v64, v64, v24
	v_fma_f16 v24, v18, s3, v16
	v_fma_f16 v16, v18, s2, v16
	v_add_f16_e32 v18, v15, v25
	v_fma_f16 v15, v49, -0.5, v15
	v_sub_f16_e32 v49, v17, v19
	v_fma_f16 v68, v49, s2, v15
	v_fma_f16 v15, v49, s3, v15
	v_add_f16_e32 v49, v67, v17
	v_add_f16_e32 v17, v17, v19
	;; [unrolled: 1-line block ×3, first 2 shown]
	v_fma_f16 v17, v17, -0.5, v67
	v_sub_f16_e32 v19, v25, v22
	v_add_f16_e32 v25, v23, v61
	s_waitcnt lgkmcnt(0)
	v_lshrrev_b32_e32 v70, 16, v20
	v_add_f16_e32 v18, v18, v22
	v_fma_f16 v22, v19, s3, v17
	v_fma_f16 v17, v19, s2, v17
	v_add_f16_e32 v19, v20, v23
	v_fma_f16 v20, v25, -0.5, v20
	v_sub_f16_e32 v25, v26, v27
	v_fma_f16 v67, v25, s2, v20
	v_fma_f16 v20, v25, s3, v20
	v_add_f16_e32 v25, v70, v26
	v_add_f16_e32 v26, v26, v27
	;; [unrolled: 1-line block ×3, first 2 shown]
	v_fma_f16 v26, v26, -0.5, v70
	v_sub_f16_e32 v23, v23, v61
	v_add_f16_e32 v61, v62, v63
	v_lshrrev_b32_e32 v73, 16, v21
	v_add_f16_e32 v25, v25, v27
	v_fma_f16 v27, v23, s3, v26
	v_fma_f16 v23, v23, s2, v26
	v_add_f16_e32 v26, v21, v62
	v_fma_f16 v21, v61, -0.5, v21
	v_sub_f16_e32 v61, v28, v29
	v_fma_f16 v69, v61, s2, v21
	v_fma_f16 v21, v61, s3, v21
	v_add_f16_e32 v61, v73, v28
	v_add_f16_e32 v28, v28, v29
	;; [unrolled: 1-line block ×3, first 2 shown]
	v_fma_f16 v28, v28, -0.5, v73
	v_sub_f16_e32 v29, v62, v63
	v_pack_b32_f16 v14, v14, v16
	v_fma_f16 v62, v29, s3, v28
	v_fma_f16 v28, v29, s2, v28
	s_waitcnt lgkmcnt(0)
	; wave barrier
	v_pack_b32_f16 v29, v64, v65
	v_pack_b32_f16 v24, v66, v24
	ds_write_b32 v82, v14 offset:96
	v_pack_b32_f16 v14, v18, v49
	v_pack_b32_f16 v16, v68, v22
	ds_write2_b32 v82, v29, v24 offset1:12
	ds_write2_b32 v84, v14, v16 offset1:12
	v_pack_b32_f16 v14, v15, v17
	ds_write_b32 v84, v14 offset:96
	v_pack_b32_f16 v14, v19, v25
	v_pack_b32_f16 v15, v67, v27
	v_add_f16_e32 v26, v26, v63
	ds_write2_b32 v85, v14, v15 offset1:12
	v_pack_b32_f16 v14, v20, v23
	ds_write_b32 v85, v14 offset:96
	v_pack_b32_f16 v14, v26, v61
	v_pack_b32_f16 v15, v69, v62
	ds_write2_b32 v86, v14, v15 offset1:12
	v_pack_b32_f16 v14, v21, v28
	ds_write_b32 v86, v14 offset:96
	s_waitcnt lgkmcnt(0)
	; wave barrier
	s_waitcnt lgkmcnt(0)
	ds_read2_b32 v[16:17], v45 offset0:124 offset1:187
	ds_read2_b32 v[18:19], v44 offset0:120 offset1:183
	;; [unrolled: 1-line block ×4, first 2 shown]
	ds_read2_b32 v[14:15], v8 offset1:63
	s_waitcnt lgkmcnt(4)
	v_lshrrev_b32_e32 v27, 16, v16
	v_mul_f16_sdwa v67, v32, v27 dst_sel:DWORD dst_unused:UNUSED_PAD src0_sel:WORD_1 src1_sel:DWORD
	s_waitcnt lgkmcnt(3)
	v_lshrrev_b32_e32 v28, 16, v18
	v_fma_f16 v67, v32, v16, v67
	v_mul_f16_sdwa v16, v32, v16 dst_sel:DWORD dst_unused:UNUSED_PAD src0_sel:WORD_1 src1_sel:DWORD
	v_fma_f16 v16, v32, v27, -v16
	v_mul_f16_sdwa v27, v33, v28 dst_sel:DWORD dst_unused:UNUSED_PAD src0_sel:WORD_1 src1_sel:DWORD
	s_waitcnt lgkmcnt(2)
	v_lshrrev_b32_e32 v63, 16, v22
	v_fma_f16 v27, v33, v18, v27
	v_mul_f16_sdwa v18, v33, v18 dst_sel:DWORD dst_unused:UNUSED_PAD src0_sel:WORD_1 src1_sel:DWORD
	v_fma_f16 v18, v33, v28, -v18
	;; [unrolled: 6-line block ×3, first 2 shown]
	v_mul_f16_sdwa v30, v31, v42 dst_sel:DWORD dst_unused:UNUSED_PAD src0_sel:WORD_1 src1_sel:DWORD
	v_lshrrev_b32_e32 v65, 16, v23
	v_fma_f16 v30, v31, v24, v30
	v_mul_f16_sdwa v24, v31, v24 dst_sel:DWORD dst_unused:UNUSED_PAD src0_sel:WORD_1 src1_sel:DWORD
	v_fma_f16 v24, v31, v42, -v24
	v_mul_f16_sdwa v31, v34, v65 dst_sel:DWORD dst_unused:UNUSED_PAD src0_sel:WORD_1 src1_sel:DWORD
	v_lshrrev_b32_e32 v66, 16, v25
	v_fma_f16 v31, v34, v23, v31
	v_mul_f16_sdwa v23, v34, v23 dst_sel:DWORD dst_unused:UNUSED_PAD src0_sel:WORD_1 src1_sel:DWORD
	v_lshrrev_b32_e32 v49, 16, v17
	v_fma_f16 v23, v34, v65, -v23
	v_mul_f16_sdwa v34, v35, v66 dst_sel:DWORD dst_unused:UNUSED_PAD src0_sel:WORD_1 src1_sel:DWORD
	v_mul_f16_sdwa v28, v38, v49 dst_sel:DWORD dst_unused:UNUSED_PAD src0_sel:WORD_1 src1_sel:DWORD
	v_fma_f16 v34, v35, v25, v34
	v_mul_f16_sdwa v25, v35, v25 dst_sel:DWORD dst_unused:UNUSED_PAD src0_sel:WORD_1 src1_sel:DWORD
	v_lshrrev_b32_e32 v61, 16, v19
	v_fma_f16 v28, v38, v17, v28
	v_mul_f16_sdwa v17, v38, v17 dst_sel:DWORD dst_unused:UNUSED_PAD src0_sel:WORD_1 src1_sel:DWORD
	v_fma_f16 v35, v35, v66, -v25
	s_waitcnt lgkmcnt(0)
	v_add_f16_e32 v25, v14, v67
	v_fma_f16 v17, v38, v49, -v17
	v_mul_f16_sdwa v32, v39, v61 dst_sel:DWORD dst_unused:UNUSED_PAD src0_sel:WORD_1 src1_sel:DWORD
	v_add_f16_e32 v38, v25, v27
	v_add_f16_e32 v25, v67, v27
	v_lshrrev_b32_e32 v26, 16, v14
	v_fma_f16 v32, v39, v19, v32
	v_mul_f16_sdwa v19, v39, v19 dst_sel:DWORD dst_unused:UNUSED_PAD src0_sel:WORD_1 src1_sel:DWORD
	v_fma_f16 v14, v25, -0.5, v14
	v_sub_f16_e32 v25, v16, v18
	v_fma_f16 v19, v39, v61, -v19
	v_fma_f16 v39, v25, s2, v14
	v_fma_f16 v49, v25, s3, v14
	v_add_f16_e32 v14, v26, v16
	v_add_f16_e32 v61, v14, v18
	;; [unrolled: 1-line block ×3, first 2 shown]
	v_fma_f16 v14, v14, -0.5, v26
	v_sub_f16_e32 v16, v67, v27
	v_fma_f16 v18, v16, s3, v14
	v_fma_f16 v63, v16, s2, v14
	v_add_f16_e32 v14, v15, v28
	ds_read2_b32 v[20:21], v8 offset0:126 offset1:189
	v_add_f16_e32 v65, v14, v32
	v_add_f16_e32 v14, v28, v32
	v_lshrrev_b32_e32 v29, 16, v15
	v_fma_f16 v14, v14, -0.5, v15
	v_sub_f16_e32 v15, v17, v19
	v_fma_f16 v66, v15, s2, v14
	v_fma_f16 v67, v15, s3, v14
	v_add_f16_e32 v14, v29, v17
	v_add_f16_e32 v68, v14, v19
	;; [unrolled: 1-line block ×3, first 2 shown]
	v_fma_f16 v14, v14, -0.5, v29
	v_sub_f16_e32 v15, v28, v32
	v_fma_f16 v19, v15, s3, v14
	v_fma_f16 v29, v15, s2, v14
	s_waitcnt lgkmcnt(0)
	v_add_f16_e32 v14, v20, v33
	v_add_f16_e32 v32, v14, v30
	;; [unrolled: 1-line block ×3, first 2 shown]
	v_lshrrev_b32_e32 v62, 16, v20
	v_fma_f16 v15, v14, -0.5, v20
	v_sub_f16_e32 v16, v22, v24
	v_fma_f16 v14, v16, s2, v15
	v_fma_f16 v15, v16, s3, v15
	v_add_f16_e32 v16, v62, v22
	v_add_f16_e32 v20, v16, v24
	;; [unrolled: 1-line block ×3, first 2 shown]
	v_fma_f16 v16, v16, -0.5, v62
	v_sub_f16_e32 v17, v33, v30
	v_fma_f16 v24, v17, s3, v16
	v_fma_f16 v26, v17, s2, v16
	v_add_f16_e32 v17, v31, v34
	v_lshrrev_b32_e32 v64, 16, v21
	v_add_f16_e32 v16, v21, v31
	v_fma_f16 v21, v17, -0.5, v21
	v_sub_f16_e32 v22, v23, v35
	v_fma_f16 v17, v22, s2, v21
	v_fma_f16 v42, v22, s3, v21
	v_add_f16_e32 v21, v64, v23
	v_add_f16_e32 v25, v21, v35
	;; [unrolled: 1-line block ×3, first 2 shown]
	v_fma_f16 v21, v21, -0.5, v64
	v_sub_f16_e32 v22, v31, v34
	v_fma_f16 v28, v22, s3, v21
	v_fma_f16 v27, v22, s2, v21
	v_pack_b32_f16 v21, v38, v61
	v_pack_b32_f16 v18, v39, v18
	s_waitcnt lgkmcnt(0)
	; wave barrier
	ds_write2_b32 v11, v21, v18 offset1:36
	v_pack_b32_f16 v18, v49, v63
	ds_write_b32 v11, v18 offset:288
	v_pack_b32_f16 v11, v65, v68
	v_pack_b32_f16 v18, v66, v19
	ds_write2_b32 v87, v11, v18 offset1:36
	v_pack_b32_f16 v11, v67, v29
	ds_write_b32 v87, v11 offset:288
	v_pack_b32_f16 v11, v32, v20
	v_pack_b32_f16 v18, v14, v24
	v_add_f16_e32 v16, v16, v34
	ds_write2_b32 v88, v11, v18 offset1:36
	v_pack_b32_f16 v11, v15, v26
	ds_write_b32 v88, v11 offset:288
	v_pack_b32_f16 v11, v16, v25
	v_pack_b32_f16 v18, v17, v28
	ds_write2_b32 v89, v11, v18 offset1:36
	v_pack_b32_f16 v11, v42, v27
	ds_write_b32 v89, v11 offset:288
	s_waitcnt lgkmcnt(0)
	; wave barrier
	s_waitcnt lgkmcnt(0)
	ds_read2_b32 v[18:19], v8 offset1:108
	ds_read2_b32 v[22:23], v45 offset0:88 offset1:196
	ds_read2_b32 v[20:21], v44 offset0:48 offset1:156
	ds_read_b32 v11, v8 offset:2592
	s_and_saveexec_b64 s[2:3], vcc
	s_cbranch_execz .LBB0_7
; %bb.6:
	ds_read2_b32 v[14:15], v8 offset0:63 offset1:171
	ds_read2_b32 v[16:17], v48 offset0:23 offset1:131
	;; [unrolled: 1-line block ×3, first 2 shown]
	ds_read_b32 v46, v8 offset:2844
	s_waitcnt lgkmcnt(3)
	v_lshrrev_b32_e32 v24, 16, v14
	v_lshrrev_b32_e32 v26, 16, v15
	s_waitcnt lgkmcnt(2)
	v_lshrrev_b32_e32 v25, 16, v16
	v_lshrrev_b32_e32 v28, 16, v17
	;; [unrolled: 3-line block ×3, first 2 shown]
	s_waitcnt lgkmcnt(0)
	v_lshrrev_b32_e32 v47, 16, v46
.LBB0_7:
	s_or_b64 exec, exec, s[2:3]
	s_waitcnt lgkmcnt(3)
	v_lshrrev_b32_e32 v29, 16, v19
	v_mul_f16_sdwa v35, v4, v29 dst_sel:DWORD dst_unused:UNUSED_PAD src0_sel:WORD_1 src1_sel:DWORD
	s_waitcnt lgkmcnt(2)
	v_lshrrev_b32_e32 v30, 16, v22
	v_fma_f16 v35, v4, v19, v35
	v_mul_f16_sdwa v19, v4, v19 dst_sel:DWORD dst_unused:UNUSED_PAD src0_sel:WORD_1 src1_sel:DWORD
	v_fma_f16 v4, v4, v29, -v19
	v_mul_f16_sdwa v19, v5, v30 dst_sel:DWORD dst_unused:UNUSED_PAD src0_sel:WORD_1 src1_sel:DWORD
	v_lshrrev_b32_e32 v31, 16, v23
	v_fma_f16 v19, v5, v22, v19
	v_mul_f16_sdwa v22, v5, v22 dst_sel:DWORD dst_unused:UNUSED_PAD src0_sel:WORD_1 src1_sel:DWORD
	v_fma_f16 v5, v5, v30, -v22
	v_mul_f16_sdwa v22, v6, v31 dst_sel:DWORD dst_unused:UNUSED_PAD src0_sel:WORD_1 src1_sel:DWORD
	s_waitcnt lgkmcnt(1)
	v_lshrrev_b32_e32 v32, 16, v20
	v_fma_f16 v22, v6, v23, v22
	v_mul_f16_sdwa v23, v6, v23 dst_sel:DWORD dst_unused:UNUSED_PAD src0_sel:WORD_1 src1_sel:DWORD
	v_fma_f16 v6, v6, v31, -v23
	v_mul_f16_sdwa v23, v7, v32 dst_sel:DWORD dst_unused:UNUSED_PAD src0_sel:WORD_1 src1_sel:DWORD
	v_lshrrev_b32_e32 v33, 16, v21
	s_waitcnt lgkmcnt(0)
	v_lshrrev_b32_e32 v34, 16, v11
	v_fma_f16 v23, v7, v20, v23
	v_mul_f16_sdwa v20, v7, v20 dst_sel:DWORD dst_unused:UNUSED_PAD src0_sel:WORD_1 src1_sel:DWORD
	v_fma_f16 v7, v7, v32, -v20
	v_mul_f16_sdwa v20, v40, v33 dst_sel:DWORD dst_unused:UNUSED_PAD src0_sel:WORD_1 src1_sel:DWORD
	v_mul_f16_sdwa v29, v41, v34 dst_sel:DWORD dst_unused:UNUSED_PAD src0_sel:WORD_1 src1_sel:DWORD
	v_fma_f16 v20, v40, v21, v20
	v_mul_f16_sdwa v21, v40, v21 dst_sel:DWORD dst_unused:UNUSED_PAD src0_sel:WORD_1 src1_sel:DWORD
	v_fma_f16 v29, v41, v11, v29
	v_mul_f16_sdwa v11, v41, v11 dst_sel:DWORD dst_unused:UNUSED_PAD src0_sel:WORD_1 src1_sel:DWORD
	v_fma_f16 v21, v40, v33, -v21
	v_fma_f16 v11, v41, v34, -v11
	v_add_f16_e32 v30, v35, v29
	v_add_f16_e32 v31, v4, v11
	v_sub_f16_e32 v4, v4, v11
	v_add_f16_e32 v11, v19, v20
	v_add_f16_e32 v32, v5, v21
	v_sub_f16_e32 v29, v35, v29
	v_sub_f16_e32 v19, v19, v20
	;; [unrolled: 1-line block ×3, first 2 shown]
	v_add_f16_e32 v20, v22, v23
	v_add_f16_e32 v21, v6, v7
	v_sub_f16_e32 v22, v23, v22
	v_sub_f16_e32 v6, v7, v6
	v_add_f16_e32 v7, v11, v30
	v_add_f16_e32 v23, v32, v31
	v_sub_f16_e32 v33, v11, v30
	v_sub_f16_e32 v34, v32, v31
	;; [unrolled: 1-line block ×6, first 2 shown]
	v_add_f16_e32 v35, v22, v19
	v_add_f16_e32 v38, v6, v5
	v_sub_f16_e32 v39, v22, v19
	v_sub_f16_e32 v40, v6, v5
	;; [unrolled: 1-line block ×4, first 2 shown]
	v_add_f16_e32 v7, v20, v7
	v_add_f16_e32 v20, v21, v23
	v_sub_f16_e32 v22, v29, v22
	v_sub_f16_e32 v6, v4, v6
	v_add_f16_e32 v21, v35, v29
	v_add_f16_e32 v4, v38, v4
	;; [unrolled: 1-line block ×3, first 2 shown]
	v_add_f16_sdwa v18, v18, v20 dst_sel:DWORD dst_unused:UNUSED_PAD src0_sel:WORD_1 src1_sel:DWORD
	v_mul_f16_e32 v29, 0x3a52, v30
	v_mul_f16_e32 v30, 0x3a52, v31
	s_movk_i32 s13, 0x2b26
	v_mul_f16_e32 v31, 0x2b26, v11
	v_mul_f16_e32 v35, 0x2b26, v32
	;; [unrolled: 1-line block ×4, first 2 shown]
	s_mov_b32 s8, 0xbb00
	v_mul_f16_e32 v40, 0xbb00, v19
	v_mul_f16_e32 v41, 0xbb00, v5
	s_mov_b32 s14, 0xbcab
	s_movk_i32 s9, 0x39e0
	s_mov_b32 s10, 0xb9e0
	s_mov_b32 s15, 0xb574
	s_movk_i32 s11, 0x3574
	v_fma_f16 v7, v7, s14, v23
	v_fma_f16 v20, v20, s14, v18
	;; [unrolled: 1-line block ×4, first 2 shown]
	v_fma_f16 v31, v33, s9, -v31
	v_fma_f16 v35, v34, s9, -v35
	;; [unrolled: 1-line block ×4, first 2 shown]
	v_fma_f16 v33, v22, s15, v38
	v_fma_f16 v34, v6, s15, v39
	v_fma_f16 v19, v19, s8, -v38
	v_fma_f16 v5, v5, s8, -v39
	;; [unrolled: 1-line block ×4, first 2 shown]
	s_mov_b32 s12, 0xb70e
	v_add_f16_e32 v11, v11, v7
	v_add_f16_e32 v32, v32, v20
	;; [unrolled: 1-line block ×6, first 2 shown]
	v_fma_f16 v29, v21, s12, v33
	v_fma_f16 v30, v4, s12, v34
	;; [unrolled: 1-line block ×6, first 2 shown]
	v_add_f16_e32 v6, v30, v11
	v_sub_f16_e32 v22, v32, v29
	v_add_f16_e32 v33, v4, v7
	v_sub_f16_e32 v38, v31, v5
	v_add_f16_e32 v39, v19, v35
	v_add_f16_e32 v5, v5, v31
	v_sub_f16_e32 v19, v35, v19
	v_sub_f16_e32 v4, v7, v4
	v_add_f16_e32 v7, v21, v20
	v_sub_f16_e32 v34, v20, v21
	v_sub_f16_e32 v11, v11, v30
	v_add_f16_e32 v20, v29, v32
	v_pack_b32_f16 v18, v23, v18
	v_pack_b32_f16 v6, v6, v22
	;; [unrolled: 1-line block ×4, first 2 shown]
	ds_write2_b32 v8, v18, v6 offset1:108
	v_pack_b32_f16 v6, v33, v34
	v_pack_b32_f16 v18, v38, v39
	ds_write2_b32 v44, v5, v4 offset0:48 offset1:156
	v_pack_b32_f16 v4, v11, v20
	ds_write2_b32 v45, v6, v18 offset0:88 offset1:196
	ds_write_b32 v8, v4 offset:2592
	s_and_saveexec_b64 s[2:3], vcc
	s_cbranch_execz .LBB0_9
; %bb.8:
	v_mul_f16_sdwa v11, v2, v28 dst_sel:DWORD dst_unused:UNUSED_PAD src0_sel:WORD_1 src1_sel:DWORD
	v_fma_f16 v11, v2, v17, v11
	v_mul_f16_sdwa v17, v2, v17 dst_sel:DWORD dst_unused:UNUSED_PAD src0_sel:WORD_1 src1_sel:DWORD
	v_mul_f16_sdwa v4, v0, v26 dst_sel:DWORD dst_unused:UNUSED_PAD src0_sel:WORD_1 src1_sel:DWORD
	;; [unrolled: 1-line block ×4, first 2 shown]
	v_fma_f16 v2, v2, v28, -v17
	v_mul_f16_sdwa v17, v3, v42 dst_sel:DWORD dst_unused:UNUSED_PAD src0_sel:WORD_1 src1_sel:DWORD
	v_fma_f16 v4, v0, v15, v4
	v_fma_f16 v7, v3, v42, v7
	v_fma_f16 v20, v1, v16, v20
	v_mul_f16_sdwa v30, v37, v46 dst_sel:DWORD dst_unused:UNUSED_PAD src0_sel:WORD_1 src1_sel:DWORD
	v_mul_f16_sdwa v15, v0, v15 dst_sel:DWORD dst_unused:UNUSED_PAD src0_sel:WORD_1 src1_sel:DWORD
	v_fma_f16 v3, v3, v27, -v17
	v_mul_f16_sdwa v27, v36, v43 dst_sel:DWORD dst_unused:UNUSED_PAD src0_sel:WORD_1 src1_sel:DWORD
	v_mul_f16_sdwa v16, v1, v16 dst_sel:DWORD dst_unused:UNUSED_PAD src0_sel:WORD_1 src1_sel:DWORD
	;; [unrolled: 1-line block ×4, first 2 shown]
	v_fma_f16 v30, v37, v47, -v30
	v_fma_f16 v0, v0, v26, -v15
	;; [unrolled: 1-line block ×4, first 2 shown]
	v_fma_f16 v5, v37, v46, v5
	v_fma_f16 v21, v36, v43, v21
	v_add_f16_e32 v15, v30, v0
	v_add_f16_e32 v17, v3, v2
	;; [unrolled: 1-line block ×3, first 2 shown]
	v_sub_f16_e32 v0, v0, v30
	v_sub_f16_e32 v2, v3, v2
	;; [unrolled: 1-line block ×6, first 2 shown]
	v_add_f16_e32 v4, v5, v4
	v_add_f16_e32 v5, v7, v11
	;; [unrolled: 1-line block ×3, first 2 shown]
	v_sub_f16_e32 v3, v0, v2
	v_sub_f16_e32 v9, v2, v1
	v_add_f16_e32 v2, v2, v1
	v_sub_f16_e32 v19, v6, v18
	v_sub_f16_e32 v23, v18, v22
	v_add_f16_e32 v18, v18, v22
	v_add_f16_e32 v28, v16, v15
	v_add_f16_e32 v31, v11, v4
	v_add_f16_e32 v2, v2, v0
	v_sub_f16_e32 v0, v1, v0
	v_add_f16_e32 v18, v18, v6
	v_sub_f16_e32 v26, v15, v17
	v_sub_f16_e32 v25, v17, v16
	v_add_f16_e32 v17, v17, v28
	v_sub_f16_e32 v7, v4, v5
	v_sub_f16_e32 v20, v5, v11
	v_add_f16_e32 v5, v5, v31
	v_mul_f16_e32 v9, 0x3846, v9
	v_sub_f16_e32 v6, v22, v6
	v_mul_f16_e32 v1, 0xbb00, v0
	v_mul_f16_e32 v23, 0x3846, v23
	;; [unrolled: 1-line block ×4, first 2 shown]
	v_add_f16_e32 v24, v24, v17
	v_mul_f16_e32 v7, 0x3a52, v7
	v_mul_f16_e32 v21, 0x2b26, v20
	v_add_f16_e32 v14, v14, v5
	v_fma_f16 v30, v3, s15, v9
	v_mul_f16_e32 v22, 0xbb00, v6
	v_sub_f16_e32 v15, v16, v15
	v_sub_f16_e32 v4, v11, v4
	v_fma_f16 v1, v3, s11, -v1
	v_fma_f16 v0, v0, s8, -v9
	v_fma_f16 v29, v19, s15, v23
	v_fma_f16 v25, v25, s13, v26
	;; [unrolled: 1-line block ×6, first 2 shown]
	v_fma_f16 v19, v19, s11, -v22
	v_fma_f16 v16, v15, s10, -v26
	;; [unrolled: 1-line block ×3, first 2 shown]
	v_fma_f16 v1, v2, s12, v1
	v_fma_f16 v11, v15, s9, -v27
	v_fma_f16 v6, v6, s8, -v23
	v_fma_f16 v0, v2, s12, v0
	v_fma_f16 v2, v4, s9, -v21
	v_fma_f16 v29, v18, s12, v29
	v_add_f16_e32 v25, v25, v17
	v_add_f16_e32 v20, v20, v5
	v_fma_f16 v19, v18, s12, v19
	v_add_f16_e32 v16, v16, v17
	v_add_f16_e32 v7, v7, v5
	;; [unrolled: 1-line block ×3, first 2 shown]
	v_fma_f16 v6, v18, s12, v6
	v_add_f16_e32 v2, v2, v5
	v_sub_f16_e32 v3, v7, v1
	v_sub_f16_e32 v15, v11, v6
	v_add_f16_e32 v4, v0, v2
	v_add_f16_e32 v5, v6, v11
	v_sub_f16_e32 v0, v2, v0
	v_sub_f16_e32 v2, v16, v19
	v_add_f16_e32 v1, v1, v7
	v_sub_f16_e32 v6, v25, v29
	v_add_f16_e32 v7, v30, v20
	v_add_f16_e32 v22, v19, v16
	v_pack_b32_f16 v9, v14, v24
	v_pack_b32_f16 v6, v7, v6
	;; [unrolled: 1-line block ×4, first 2 shown]
	v_add_u32_e32 v2, 0x400, v8
	v_add_f16_e32 v28, v29, v25
	v_sub_f16_e32 v31, v20, v30
	ds_write2_b32 v8, v9, v6 offset0:63 offset1:171
	ds_write2_b32 v2, v1, v0 offset0:23 offset1:131
	v_pack_b32_f16 v0, v4, v15
	v_pack_b32_f16 v1, v3, v22
	v_add_u32_e32 v2, 0x600, v8
	ds_write2_b32 v2, v0, v1 offset0:111 offset1:219
	v_pack_b32_f16 v0, v31, v28
	ds_write_b32 v8, v0 offset:2844
.LBB0_9:
	s_or_b64 exec, exec, s[2:3]
	s_waitcnt lgkmcnt(0)
	; wave barrier
	s_waitcnt lgkmcnt(0)
	ds_read2_b32 v[4:5], v8 offset1:63
	v_mov_b32_e32 v2, s0
	v_mov_b32_e32 v3, s1
	v_mad_u64_u32 v[6:7], s[0:1], s6, v12, 0
	s_waitcnt lgkmcnt(0)
	v_lshrrev_b32_e32 v9, 16, v4
	v_mul_f16_sdwa v1, v60, v9 dst_sel:DWORD dst_unused:UNUSED_PAD src0_sel:WORD_1 src1_sel:DWORD
	v_fma_f16 v1, v60, v4, v1
	v_cvt_f32_f16_e32 v11, v1
	v_mov_b32_e32 v0, v7
	v_mad_u64_u32 v[0:1], s[0:1], s7, v12, v[0:1]
	s_mov_b32 s2, 0x6b015ac0
	v_mov_b32_e32 v7, v0
	v_cvt_f64_f32_e32 v[0:1], v11
	s_mov_b32 s3, 0x3f55ac05
	v_mul_f64 v[0:1], v[0:1], s[2:3]
	s_movk_i32 s6, 0x1ff
	v_and_or_b32 v0, v1, s6, v0
	v_cmp_ne_u32_e32 vcc, 0, v0
	v_lshrrev_b32_e32 v11, 8, v1
	s_movk_i32 s7, 0xffe
	v_cndmask_b32_e64 v0, 0, 1, vcc
	v_bfe_u32 v12, v1, 20, 11
	v_and_or_b32 v11, v11, s7, v0
	v_sub_u32_e32 v14, 0x3f1, v12
	v_or_b32_e32 v0, 0x1000, v11
	v_med3_i32 v14, v14, 0, 13
	v_lshrrev_b32_e32 v15, v14, v0
	v_lshlrev_b32_e32 v14, v14, v15
	v_cmp_ne_u32_e32 vcc, v14, v0
	v_add_u32_e32 v12, 0xfffffc10, v12
	v_lshl_or_b32 v14, v12, 12, v11
	v_cndmask_b32_e64 v0, 0, 1, vcc
	v_or_b32_e32 v0, v15, v0
	v_cmp_gt_i32_e32 vcc, 1, v12
	v_mul_f16_sdwa v4, v60, v4 dst_sel:DWORD dst_unused:UNUSED_PAD src0_sel:WORD_1 src1_sel:DWORD
	v_fma_f16 v4, v60, v9, -v4
	v_cndmask_b32_e32 v0, v14, v0, vcc
	v_and_b32_e32 v14, 7, v0
	v_cmp_lt_i32_e32 vcc, 5, v14
	v_cmp_eq_u32_e64 s[0:1], 3, v14
	v_lshrrev_b32_e32 v0, 2, v0
	s_or_b64 vcc, s[0:1], vcc
	v_addc_co_u32_e32 v14, vcc, 0, v0, vcc
	v_mov_b32_e32 v0, 0x7c00
	v_cmp_gt_i32_e32 vcc, 31, v12
	v_cvt_f32_f16_e32 v4, v4
	s_movk_i32 s8, 0x40f
	v_cndmask_b32_e32 v14, v0, v14, vcc
	v_cmp_ne_u32_e32 vcc, 0, v11
	s_mov_b32 s9, 0x8000
	v_and_b32_sdwa v1, v1, s9 dst_sel:DWORD dst_unused:UNUSED_PAD src0_sel:WORD_1 src1_sel:DWORD
	v_cndmask_b32_e64 v11, 0, 1, vcc
	v_lshl_or_b32 v11, v11, 9, v0
	v_cmp_eq_u32_e32 vcc, s8, v12
	s_mov_b32 s10, 0xffff
	v_lshl_add_u64 v[2:3], v[6:7], 2, v[2:3]
	v_cndmask_b32_e32 v9, v14, v11, vcc
	v_cvt_f64_f32_e32 v[14:15], v4
	v_mul_f64 v[14:15], v[14:15], s[2:3]
	v_and_or_b32 v4, v15, s6, v14
	v_cmp_ne_u32_e32 vcc, 0, v4
	v_lshrrev_b32_e32 v11, 8, v15
	v_bfe_u32 v12, v15, 20, 11
	v_cndmask_b32_e64 v4, 0, 1, vcc
	v_and_or_b32 v4, v11, s7, v4
	v_sub_u32_e32 v14, 0x3f1, v12
	v_or_b32_e32 v11, 0x1000, v4
	v_med3_i32 v14, v14, 0, 13
	v_lshrrev_b32_e32 v16, v14, v11
	v_lshlrev_b32_e32 v14, v14, v16
	v_cmp_ne_u32_e32 vcc, v14, v11
	v_add_u32_e32 v12, 0xfffffc10, v12
	v_lshl_or_b32 v14, v12, 12, v4
	v_cndmask_b32_e64 v11, 0, 1, vcc
	v_or_b32_e32 v11, v16, v11
	v_cmp_gt_i32_e32 vcc, 1, v12
	v_bitop3_b32 v1, v1, s10, v9 bitop3:0xc8
	s_mul_i32 s11, s5, 0x5e8
	v_cndmask_b32_e32 v11, v14, v11, vcc
	v_and_b32_e32 v14, 7, v11
	v_cmp_lt_i32_e32 vcc, 5, v14
	v_cmp_eq_u32_e64 s[0:1], 3, v14
	v_lshrrev_b32_e32 v11, 2, v11
	s_or_b64 vcc, s[0:1], vcc
	v_addc_co_u32_e32 v11, vcc, 0, v11, vcc
	v_cmp_gt_i32_e32 vcc, 31, v12
	s_nop 1
	v_cndmask_b32_e32 v11, v0, v11, vcc
	v_cmp_ne_u32_e32 vcc, 0, v4
	s_nop 1
	v_cndmask_b32_e64 v4, 0, 1, vcc
	v_lshl_or_b32 v4, v4, 9, v0
	v_cmp_eq_u32_e32 vcc, s8, v12
	s_nop 1
	v_cndmask_b32_e32 v4, v11, v4, vcc
	v_lshrrev_b32_e32 v11, 16, v15
	v_mad_u64_u32 v[14:15], s[0:1], s4, v10, 0
	v_and_or_b32 v12, v11, s9, v4
	v_mov_b32_e32 v4, v15
	v_mad_u64_u32 v[10:11], s[0:1], s5, v10, v[4:5]
	v_add_u32_e32 v4, 0x400, v8
	ds_read2_b32 v[16:17], v4 offset0:122 offset1:185
	v_mov_b32_e32 v15, v10
	v_lshl_or_b32 v1, v12, 16, v1
	v_lshl_add_u64 v[2:3], v[14:15], 2, v[2:3]
	global_store_dword v[2:3], v1, off
	s_waitcnt lgkmcnt(0)
	v_lshrrev_b32_e32 v4, 16, v16
	v_mul_f16_sdwa v9, v59, v4 dst_sel:DWORD dst_unused:UNUSED_PAD src0_sel:WORD_1 src1_sel:DWORD
	v_fma_f16 v9, v59, v16, v9
	v_cvt_f32_f16_e32 v9, v9
	v_cvt_f64_f32_e32 v[6:7], v9
	v_mul_f64 v[6:7], v[6:7], s[2:3]
	v_and_or_b32 v1, v7, s6, v6
	v_cmp_ne_u32_e32 vcc, 0, v1
	v_lshrrev_b32_e32 v6, 8, v7
	v_bfe_u32 v9, v7, 20, 11
	v_cndmask_b32_e64 v1, 0, 1, vcc
	v_and_or_b32 v1, v6, s7, v1
	v_sub_u32_e32 v10, 0x3f1, v9
	v_or_b32_e32 v6, 0x1000, v1
	v_med3_i32 v10, v10, 0, 13
	v_lshrrev_b32_e32 v11, v10, v6
	v_lshlrev_b32_e32 v10, v10, v11
	v_cmp_ne_u32_e32 vcc, v10, v6
	v_add_u32_e32 v9, 0xfffffc10, v9
	v_lshl_or_b32 v10, v9, 12, v1
	v_cndmask_b32_e64 v6, 0, 1, vcc
	v_or_b32_e32 v6, v11, v6
	v_cmp_gt_i32_e32 vcc, 1, v9
	s_nop 1
	v_cndmask_b32_e32 v6, v10, v6, vcc
	v_and_b32_e32 v10, 7, v6
	v_cmp_lt_i32_e32 vcc, 5, v10
	v_cmp_eq_u32_e64 s[0:1], 3, v10
	v_lshrrev_b32_e32 v6, 2, v6
	s_or_b64 vcc, s[0:1], vcc
	v_mul_f16_sdwa v10, v59, v16 dst_sel:DWORD dst_unused:UNUSED_PAD src0_sel:WORD_1 src1_sel:DWORD
	v_addc_co_u32_e32 v6, vcc, 0, v6, vcc
	v_fma_f16 v4, v59, v4, -v10
	v_cmp_gt_i32_e32 vcc, 31, v9
	v_cvt_f32_f16_e32 v4, v4
	s_nop 0
	v_cndmask_b32_e32 v6, v0, v6, vcc
	v_cmp_ne_u32_e32 vcc, 0, v1
	s_nop 1
	v_cndmask_b32_e64 v1, 0, 1, vcc
	v_lshl_or_b32 v1, v1, 9, v0
	v_cmp_eq_u32_e32 vcc, s8, v9
	v_and_b32_sdwa v9, v7, s9 dst_sel:DWORD dst_unused:UNUSED_PAD src0_sel:WORD_1 src1_sel:DWORD
	s_nop 0
	v_cndmask_b32_e32 v1, v6, v1, vcc
	v_cvt_f64_f32_e32 v[6:7], v4
	v_mul_f64 v[6:7], v[6:7], s[2:3]
	v_and_or_b32 v4, v7, s6, v6
	v_cmp_ne_u32_e32 vcc, 0, v4
	v_lshrrev_b32_e32 v6, 8, v7
	v_bfe_u32 v10, v7, 20, 11
	v_cndmask_b32_e64 v4, 0, 1, vcc
	v_and_or_b32 v4, v6, s7, v4
	v_sub_u32_e32 v11, 0x3f1, v10
	v_or_b32_e32 v6, 0x1000, v4
	v_med3_i32 v11, v11, 0, 13
	v_lshrrev_b32_e32 v12, v11, v6
	v_lshlrev_b32_e32 v11, v11, v12
	v_cmp_ne_u32_e32 vcc, v11, v6
	v_add_u32_e32 v10, 0xfffffc10, v10
	v_lshl_or_b32 v11, v10, 12, v4
	v_cndmask_b32_e64 v6, 0, 1, vcc
	v_or_b32_e32 v6, v12, v6
	v_cmp_gt_i32_e32 vcc, 1, v10
	v_bitop3_b32 v1, v9, s10, v1 bitop3:0xc8
	v_lshrrev_b32_e32 v9, 16, v5
	v_cndmask_b32_e32 v6, v11, v6, vcc
	v_and_b32_e32 v11, 7, v6
	v_cmp_lt_i32_e32 vcc, 5, v11
	v_cmp_eq_u32_e64 s[0:1], 3, v11
	v_lshrrev_b32_e32 v6, 2, v6
	s_or_b64 vcc, s[0:1], vcc
	v_addc_co_u32_e32 v6, vcc, 0, v6, vcc
	v_cmp_gt_i32_e32 vcc, 31, v10
	s_nop 1
	v_cndmask_b32_e32 v6, v0, v6, vcc
	v_cmp_ne_u32_e32 vcc, 0, v4
	s_nop 1
	v_cndmask_b32_e64 v4, 0, 1, vcc
	v_lshl_or_b32 v4, v4, 9, v0
	v_cmp_eq_u32_e32 vcc, s8, v10
	s_nop 1
	v_cndmask_b32_e32 v4, v6, v4, vcc
	v_lshrrev_b32_e32 v6, 16, v7
	v_and_or_b32 v4, v6, s9, v4
	v_lshl_or_b32 v4, v4, 16, v1
	v_mov_b32_e32 v1, 0x5e8
	v_mad_u64_u32 v[6:7], s[0:1], s4, v1, v[2:3]
	v_mul_f16_sdwa v2, v58, v9 dst_sel:DWORD dst_unused:UNUSED_PAD src0_sel:WORD_1 src1_sel:DWORD
	v_fma_f16 v2, v58, v5, v2
	v_cvt_f32_f16_e32 v2, v2
	v_add_u32_e32 v7, s11, v7
	global_store_dword v[6:7], v4, off
	v_mul_f16_sdwa v5, v58, v5 dst_sel:DWORD dst_unused:UNUSED_PAD src0_sel:WORD_1 src1_sel:DWORD
	v_cvt_f64_f32_e32 v[2:3], v2
	v_mul_f64 v[2:3], v[2:3], s[2:3]
	v_and_or_b32 v2, v3, s6, v2
	v_cmp_ne_u32_e32 vcc, 0, v2
	v_lshrrev_b32_e32 v4, 8, v3
	v_bfe_u32 v10, v3, 20, 11
	v_cndmask_b32_e64 v2, 0, 1, vcc
	v_and_or_b32 v2, v4, s7, v2
	v_sub_u32_e32 v11, 0x3f1, v10
	v_or_b32_e32 v4, 0x1000, v2
	v_med3_i32 v11, v11, 0, 13
	v_lshrrev_b32_e32 v12, v11, v4
	v_lshlrev_b32_e32 v11, v11, v12
	v_cmp_ne_u32_e32 vcc, v11, v4
	v_add_u32_e32 v10, 0xfffffc10, v10
	v_lshl_or_b32 v11, v10, 12, v2
	v_cndmask_b32_e64 v4, 0, 1, vcc
	v_or_b32_e32 v4, v12, v4
	v_cmp_gt_i32_e32 vcc, 1, v10
	v_fma_f16 v5, v58, v9, -v5
	v_cvt_f32_f16_e32 v5, v5
	v_cndmask_b32_e32 v4, v11, v4, vcc
	v_and_b32_e32 v11, 7, v4
	v_cmp_lt_i32_e32 vcc, 5, v11
	v_cmp_eq_u32_e64 s[0:1], 3, v11
	v_lshrrev_b32_e32 v4, 2, v4
	s_or_b64 vcc, s[0:1], vcc
	v_addc_co_u32_e32 v4, vcc, 0, v4, vcc
	v_cmp_gt_i32_e32 vcc, 31, v10
	v_and_b32_sdwa v9, v3, s9 dst_sel:DWORD dst_unused:UNUSED_PAD src0_sel:WORD_1 src1_sel:DWORD
	s_nop 0
	v_cndmask_b32_e32 v4, v0, v4, vcc
	v_cmp_ne_u32_e32 vcc, 0, v2
	s_nop 1
	v_cndmask_b32_e64 v2, 0, 1, vcc
	v_lshl_or_b32 v2, v2, 9, v0
	v_cmp_eq_u32_e32 vcc, s8, v10
	s_nop 1
	v_cndmask_b32_e32 v4, v4, v2, vcc
	v_cvt_f64_f32_e32 v[2:3], v5
	v_mul_f64 v[2:3], v[2:3], s[2:3]
	v_and_or_b32 v2, v3, s6, v2
	v_cmp_ne_u32_e32 vcc, 0, v2
	v_lshrrev_b32_e32 v5, 8, v3
	v_bfe_u32 v10, v3, 20, 11
	v_cndmask_b32_e64 v2, 0, 1, vcc
	v_and_or_b32 v2, v5, s7, v2
	v_sub_u32_e32 v11, 0x3f1, v10
	v_or_b32_e32 v5, 0x1000, v2
	v_med3_i32 v11, v11, 0, 13
	v_lshrrev_b32_e32 v12, v11, v5
	v_lshlrev_b32_e32 v11, v11, v12
	v_cmp_ne_u32_e32 vcc, v11, v5
	v_add_u32_e32 v10, 0xfffffc10, v10
	v_lshl_or_b32 v11, v10, 12, v2
	v_cndmask_b32_e64 v5, 0, 1, vcc
	v_or_b32_e32 v5, v12, v5
	v_cmp_gt_i32_e32 vcc, 1, v10
	v_lshrrev_b32_e32 v3, 16, v3
	s_nop 0
	v_cndmask_b32_e32 v5, v11, v5, vcc
	v_and_b32_e32 v11, 7, v5
	v_cmp_lt_i32_e32 vcc, 5, v11
	v_cmp_eq_u32_e64 s[0:1], 3, v11
	v_lshrrev_b32_e32 v5, 2, v5
	s_or_b64 vcc, s[0:1], vcc
	v_addc_co_u32_e32 v5, vcc, 0, v5, vcc
	v_cmp_gt_i32_e32 vcc, 31, v10
	s_nop 1
	v_cndmask_b32_e32 v5, v0, v5, vcc
	v_cmp_ne_u32_e32 vcc, 0, v2
	s_nop 1
	v_cndmask_b32_e64 v2, 0, 1, vcc
	v_lshl_or_b32 v2, v2, 9, v0
	v_cmp_eq_u32_e32 vcc, s8, v10
	s_nop 1
	v_cndmask_b32_e32 v2, v5, v2, vcc
	v_and_or_b32 v2, v3, s9, v2
	v_bitop3_b32 v3, v9, s10, v4 bitop3:0xc8
	v_lshl_or_b32 v3, v2, 16, v3
	v_mov_b32_e32 v2, 0xfffffb14
	v_lshrrev_b32_e32 v9, 16, v17
	v_mad_u64_u32 v[4:5], s[0:1], s4, v2, v[6:7]
	v_mul_f16_sdwa v6, v57, v9 dst_sel:DWORD dst_unused:UNUSED_PAD src0_sel:WORD_1 src1_sel:DWORD
	v_fma_f16 v6, v57, v17, v6
	v_cvt_f32_f16_e32 v6, v6
	s_mul_i32 s0, s5, 0xfffffb14
	s_sub_i32 s5, s0, s4
	v_add_u32_e32 v5, s5, v5
	v_cvt_f64_f32_e32 v[6:7], v6
	v_mul_f64 v[6:7], v[6:7], s[2:3]
	global_store_dword v[4:5], v3, off
	v_and_or_b32 v3, v7, s6, v6
	v_cmp_ne_u32_e32 vcc, 0, v3
	v_lshrrev_b32_e32 v6, 8, v7
	v_bfe_u32 v10, v7, 20, 11
	v_cndmask_b32_e64 v3, 0, 1, vcc
	v_and_or_b32 v3, v6, s7, v3
	v_sub_u32_e32 v11, 0x3f1, v10
	v_or_b32_e32 v6, 0x1000, v3
	v_med3_i32 v11, v11, 0, 13
	v_lshrrev_b32_e32 v12, v11, v6
	v_lshlrev_b32_e32 v11, v11, v12
	v_cmp_ne_u32_e32 vcc, v11, v6
	v_add_u32_e32 v10, 0xfffffc10, v10
	v_lshl_or_b32 v11, v10, 12, v3
	v_cndmask_b32_e64 v6, 0, 1, vcc
	v_or_b32_e32 v6, v12, v6
	v_cmp_gt_i32_e32 vcc, 1, v10
	v_and_b32_sdwa v12, v7, s9 dst_sel:DWORD dst_unused:UNUSED_PAD src0_sel:WORD_1 src1_sel:DWORD
	s_nop 0
	v_cndmask_b32_e32 v6, v11, v6, vcc
	v_and_b32_e32 v11, 7, v6
	v_cmp_lt_i32_e32 vcc, 5, v11
	v_cmp_eq_u32_e64 s[0:1], 3, v11
	v_lshrrev_b32_e32 v6, 2, v6
	s_or_b64 vcc, s[0:1], vcc
	v_mul_f16_sdwa v11, v57, v17 dst_sel:DWORD dst_unused:UNUSED_PAD src0_sel:WORD_1 src1_sel:DWORD
	v_addc_co_u32_e32 v6, vcc, 0, v6, vcc
	v_fma_f16 v9, v57, v9, -v11
	v_cmp_gt_i32_e32 vcc, 31, v10
	v_cvt_f32_f16_e32 v9, v9
	s_nop 0
	v_cndmask_b32_e32 v6, v0, v6, vcc
	v_cmp_ne_u32_e32 vcc, 0, v3
	s_nop 1
	v_cndmask_b32_e64 v3, 0, 1, vcc
	v_lshl_or_b32 v3, v3, 9, v0
	v_cmp_eq_u32_e32 vcc, s8, v10
	s_nop 1
	v_cndmask_b32_e32 v3, v6, v3, vcc
	v_cvt_f64_f32_e32 v[6:7], v9
	v_mul_f64 v[6:7], v[6:7], s[2:3]
	v_and_or_b32 v6, v7, s6, v6
	v_cmp_ne_u32_e32 vcc, 0, v6
	v_lshrrev_b32_e32 v9, 8, v7
	v_bfe_u32 v10, v7, 20, 11
	v_cndmask_b32_e64 v6, 0, 1, vcc
	v_and_or_b32 v6, v9, s7, v6
	v_sub_u32_e32 v11, 0x3f1, v10
	v_or_b32_e32 v9, 0x1000, v6
	v_med3_i32 v11, v11, 0, 13
	v_lshrrev_b32_e32 v14, v11, v9
	v_lshlrev_b32_e32 v11, v11, v14
	v_cmp_ne_u32_e32 vcc, v11, v9
	v_add_u32_e32 v10, 0xfffffc10, v10
	v_lshl_or_b32 v11, v10, 12, v6
	v_cndmask_b32_e64 v9, 0, 1, vcc
	v_or_b32_e32 v9, v14, v9
	v_cmp_gt_i32_e32 vcc, 1, v10
	v_lshrrev_b32_e32 v7, 16, v7
	v_bitop3_b32 v3, v12, s10, v3 bitop3:0xc8
	v_cndmask_b32_e32 v9, v11, v9, vcc
	v_and_b32_e32 v11, 7, v9
	v_cmp_lt_i32_e32 vcc, 5, v11
	v_cmp_eq_u32_e64 s[0:1], 3, v11
	v_lshrrev_b32_e32 v9, 2, v9
	s_or_b64 vcc, s[0:1], vcc
	v_addc_co_u32_e32 v9, vcc, 0, v9, vcc
	v_cmp_gt_i32_e32 vcc, 31, v10
	v_mad_u64_u32 v[4:5], s[0:1], s4, v1, v[4:5]
	s_nop 0
	v_cndmask_b32_e32 v9, v0, v9, vcc
	v_cmp_ne_u32_e32 vcc, 0, v6
	v_add_u32_e32 v5, s11, v5
	s_nop 0
	v_cndmask_b32_e64 v6, 0, 1, vcc
	v_cmp_eq_u32_e32 vcc, s8, v10
	ds_read2_b32 v[10:11], v8 offset0:126 offset1:189
	v_lshl_or_b32 v6, v6, 9, v0
	v_cndmask_b32_e32 v6, v9, v6, vcc
	v_and_or_b32 v6, v7, s9, v6
	v_lshl_or_b32 v3, v6, 16, v3
	s_waitcnt lgkmcnt(0)
	v_lshrrev_b32_e32 v9, 16, v10
	v_mul_f16_sdwa v6, v56, v9 dst_sel:DWORD dst_unused:UNUSED_PAD src0_sel:WORD_1 src1_sel:DWORD
	v_fma_f16 v6, v56, v10, v6
	v_cvt_f32_f16_e32 v6, v6
	global_store_dword v[4:5], v3, off
	v_mul_f16_sdwa v10, v56, v10 dst_sel:DWORD dst_unused:UNUSED_PAD src0_sel:WORD_1 src1_sel:DWORD
	v_fma_f16 v9, v56, v9, -v10
	v_cvt_f64_f32_e32 v[6:7], v6
	v_mul_f64 v[6:7], v[6:7], s[2:3]
	v_and_or_b32 v3, v7, s6, v6
	v_cmp_ne_u32_e32 vcc, 0, v3
	v_lshrrev_b32_e32 v6, 8, v7
	v_bfe_u32 v12, v7, 20, 11
	v_cndmask_b32_e64 v3, 0, 1, vcc
	v_and_or_b32 v3, v6, s7, v3
	v_sub_u32_e32 v14, 0x3f1, v12
	v_or_b32_e32 v6, 0x1000, v3
	v_med3_i32 v14, v14, 0, 13
	v_lshrrev_b32_e32 v15, v14, v6
	v_lshlrev_b32_e32 v14, v14, v15
	v_cmp_ne_u32_e32 vcc, v14, v6
	v_add_u32_e32 v12, 0xfffffc10, v12
	v_lshl_or_b32 v14, v12, 12, v3
	v_cndmask_b32_e64 v6, 0, 1, vcc
	v_or_b32_e32 v6, v15, v6
	v_cmp_gt_i32_e32 vcc, 1, v12
	v_cvt_f32_f16_e32 v9, v9
	v_and_b32_sdwa v10, v7, s9 dst_sel:DWORD dst_unused:UNUSED_PAD src0_sel:WORD_1 src1_sel:DWORD
	v_cndmask_b32_e32 v6, v14, v6, vcc
	v_and_b32_e32 v14, 7, v6
	v_cmp_lt_i32_e32 vcc, 5, v14
	v_cmp_eq_u32_e64 s[0:1], 3, v14
	v_lshrrev_b32_e32 v6, 2, v6
	s_or_b64 vcc, s[0:1], vcc
	v_addc_co_u32_e32 v6, vcc, 0, v6, vcc
	v_cmp_gt_i32_e32 vcc, 31, v12
	s_nop 1
	v_cndmask_b32_e32 v6, v0, v6, vcc
	v_cmp_ne_u32_e32 vcc, 0, v3
	s_nop 1
	v_cndmask_b32_e64 v3, 0, 1, vcc
	v_lshl_or_b32 v3, v3, 9, v0
	v_cmp_eq_u32_e32 vcc, s8, v12
	s_nop 1
	v_cndmask_b32_e32 v3, v6, v3, vcc
	v_cvt_f64_f32_e32 v[6:7], v9
	v_mul_f64 v[6:7], v[6:7], s[2:3]
	v_and_or_b32 v6, v7, s6, v6
	v_cmp_ne_u32_e32 vcc, 0, v6
	v_lshrrev_b32_e32 v9, 8, v7
	v_bfe_u32 v12, v7, 20, 11
	v_cndmask_b32_e64 v6, 0, 1, vcc
	v_and_or_b32 v6, v9, s7, v6
	v_sub_u32_e32 v14, 0x3f1, v12
	v_or_b32_e32 v9, 0x1000, v6
	v_med3_i32 v14, v14, 0, 13
	v_lshrrev_b32_e32 v15, v14, v9
	v_lshlrev_b32_e32 v14, v14, v15
	v_cmp_ne_u32_e32 vcc, v14, v9
	v_add_u32_e32 v12, 0xfffffc10, v12
	v_lshl_or_b32 v14, v12, 12, v6
	v_cndmask_b32_e64 v9, 0, 1, vcc
	v_or_b32_e32 v9, v15, v9
	v_cmp_gt_i32_e32 vcc, 1, v12
	v_lshrrev_b32_e32 v7, 16, v7
	v_bitop3_b32 v3, v10, s10, v3 bitop3:0xc8
	v_cndmask_b32_e32 v9, v14, v9, vcc
	v_and_b32_e32 v14, 7, v9
	v_cmp_lt_i32_e32 vcc, 5, v14
	v_cmp_eq_u32_e64 s[0:1], 3, v14
	v_lshrrev_b32_e32 v9, 2, v9
	s_or_b64 vcc, s[0:1], vcc
	v_addc_co_u32_e32 v9, vcc, 0, v9, vcc
	v_cmp_gt_i32_e32 vcc, 31, v12
	v_mad_u64_u32 v[4:5], s[0:1], s4, v2, v[4:5]
	s_nop 0
	v_cndmask_b32_e32 v9, v0, v9, vcc
	v_cmp_ne_u32_e32 vcc, 0, v6
	v_add_u32_e32 v5, s5, v5
	s_nop 0
	v_cndmask_b32_e64 v6, 0, 1, vcc
	v_lshl_or_b32 v6, v6, 9, v0
	v_cmp_eq_u32_e32 vcc, s8, v12
	s_nop 1
	v_cndmask_b32_e32 v6, v9, v6, vcc
	v_add_u32_e32 v9, 0x600, v8
	ds_read2_b32 v[14:15], v9 offset0:120 offset1:183
	v_and_or_b32 v6, v7, s9, v6
	v_lshl_or_b32 v3, v6, 16, v3
	global_store_dword v[4:5], v3, off
	s_waitcnt lgkmcnt(0)
	v_lshrrev_b32_e32 v9, 16, v14
	v_mul_f16_sdwa v6, v55, v9 dst_sel:DWORD dst_unused:UNUSED_PAD src0_sel:WORD_1 src1_sel:DWORD
	v_fma_f16 v6, v55, v14, v6
	v_cvt_f32_f16_e32 v6, v6
	v_cvt_f64_f32_e32 v[6:7], v6
	v_mul_f64 v[6:7], v[6:7], s[2:3]
	v_and_or_b32 v3, v7, s6, v6
	v_cmp_ne_u32_e32 vcc, 0, v3
	v_lshrrev_b32_e32 v6, 8, v7
	v_bfe_u32 v10, v7, 20, 11
	v_cndmask_b32_e64 v3, 0, 1, vcc
	v_and_or_b32 v3, v6, s7, v3
	v_sub_u32_e32 v12, 0x3f1, v10
	v_or_b32_e32 v6, 0x1000, v3
	v_med3_i32 v12, v12, 0, 13
	v_lshrrev_b32_e32 v16, v12, v6
	v_lshlrev_b32_e32 v12, v12, v16
	v_cmp_ne_u32_e32 vcc, v12, v6
	v_add_u32_e32 v10, 0xfffffc10, v10
	v_lshl_or_b32 v12, v10, 12, v3
	v_cndmask_b32_e64 v6, 0, 1, vcc
	v_or_b32_e32 v6, v16, v6
	v_cmp_gt_i32_e32 vcc, 1, v10
	s_nop 1
	v_cndmask_b32_e32 v6, v12, v6, vcc
	v_and_b32_e32 v12, 7, v6
	v_cmp_lt_i32_e32 vcc, 5, v12
	v_cmp_eq_u32_e64 s[0:1], 3, v12
	v_lshrrev_b32_e32 v6, 2, v6
	s_or_b64 vcc, s[0:1], vcc
	v_mul_f16_sdwa v12, v55, v14 dst_sel:DWORD dst_unused:UNUSED_PAD src0_sel:WORD_1 src1_sel:DWORD
	v_addc_co_u32_e32 v6, vcc, 0, v6, vcc
	v_fma_f16 v9, v55, v9, -v12
	v_cmp_gt_i32_e32 vcc, 31, v10
	v_cvt_f32_f16_e32 v9, v9
	s_nop 0
	v_cndmask_b32_e32 v6, v0, v6, vcc
	v_cmp_ne_u32_e32 vcc, 0, v3
	s_nop 1
	v_cndmask_b32_e64 v3, 0, 1, vcc
	v_lshl_or_b32 v3, v3, 9, v0
	v_cmp_eq_u32_e32 vcc, s8, v10
	v_and_b32_sdwa v10, v7, s9 dst_sel:DWORD dst_unused:UNUSED_PAD src0_sel:WORD_1 src1_sel:DWORD
	s_nop 0
	v_cndmask_b32_e32 v3, v6, v3, vcc
	v_cvt_f64_f32_e32 v[6:7], v9
	v_mul_f64 v[6:7], v[6:7], s[2:3]
	v_and_or_b32 v6, v7, s6, v6
	v_cmp_ne_u32_e32 vcc, 0, v6
	v_lshrrev_b32_e32 v9, 8, v7
	v_bfe_u32 v12, v7, 20, 11
	v_cndmask_b32_e64 v6, 0, 1, vcc
	v_and_or_b32 v6, v9, s7, v6
	v_sub_u32_e32 v14, 0x3f1, v12
	v_or_b32_e32 v9, 0x1000, v6
	v_med3_i32 v14, v14, 0, 13
	v_lshrrev_b32_e32 v16, v14, v9
	v_lshlrev_b32_e32 v14, v14, v16
	v_cmp_ne_u32_e32 vcc, v14, v9
	v_add_u32_e32 v12, 0xfffffc10, v12
	v_lshl_or_b32 v14, v12, 12, v6
	v_cndmask_b32_e64 v9, 0, 1, vcc
	v_or_b32_e32 v9, v16, v9
	v_cmp_gt_i32_e32 vcc, 1, v12
	v_lshrrev_b32_e32 v7, 16, v7
	v_bitop3_b32 v3, v10, s10, v3 bitop3:0xc8
	v_cndmask_b32_e32 v9, v14, v9, vcc
	v_and_b32_e32 v14, 7, v9
	v_cmp_lt_i32_e32 vcc, 5, v14
	v_cmp_eq_u32_e64 s[0:1], 3, v14
	v_lshrrev_b32_e32 v9, 2, v9
	s_or_b64 vcc, s[0:1], vcc
	v_addc_co_u32_e32 v9, vcc, 0, v9, vcc
	v_cmp_gt_i32_e32 vcc, 31, v12
	v_mad_u64_u32 v[4:5], s[0:1], s4, v1, v[4:5]
	s_nop 0
	v_cndmask_b32_e32 v9, v0, v9, vcc
	v_cmp_ne_u32_e32 vcc, 0, v6
	v_add_u32_e32 v5, s11, v5
	s_nop 0
	v_cndmask_b32_e64 v6, 0, 1, vcc
	v_lshl_or_b32 v6, v6, 9, v0
	v_cmp_eq_u32_e32 vcc, s8, v12
	s_nop 1
	v_cndmask_b32_e32 v6, v9, v6, vcc
	v_and_or_b32 v6, v7, s9, v6
	v_lshrrev_b32_e32 v9, 16, v11
	v_lshl_or_b32 v3, v6, 16, v3
	v_mul_f16_sdwa v6, v54, v9 dst_sel:DWORD dst_unused:UNUSED_PAD src0_sel:WORD_1 src1_sel:DWORD
	v_fma_f16 v6, v54, v11, v6
	v_cvt_f32_f16_e32 v6, v6
	global_store_dword v[4:5], v3, off
	v_mul_f16_sdwa v11, v54, v11 dst_sel:DWORD dst_unused:UNUSED_PAD src0_sel:WORD_1 src1_sel:DWORD
	v_fma_f16 v9, v54, v9, -v11
	v_cvt_f64_f32_e32 v[6:7], v6
	v_mul_f64 v[6:7], v[6:7], s[2:3]
	v_and_or_b32 v3, v7, s6, v6
	v_cmp_ne_u32_e32 vcc, 0, v3
	v_lshrrev_b32_e32 v6, 8, v7
	v_bfe_u32 v10, v7, 20, 11
	v_cndmask_b32_e64 v3, 0, 1, vcc
	v_and_or_b32 v3, v6, s7, v3
	v_sub_u32_e32 v12, 0x3f1, v10
	v_or_b32_e32 v6, 0x1000, v3
	v_med3_i32 v12, v12, 0, 13
	v_lshrrev_b32_e32 v14, v12, v6
	v_lshlrev_b32_e32 v12, v12, v14
	v_cmp_ne_u32_e32 vcc, v12, v6
	v_add_u32_e32 v10, 0xfffffc10, v10
	v_lshl_or_b32 v12, v10, 12, v3
	v_cndmask_b32_e64 v6, 0, 1, vcc
	v_or_b32_e32 v6, v14, v6
	v_cmp_gt_i32_e32 vcc, 1, v10
	v_cvt_f32_f16_e32 v9, v9
	s_nop 0
	v_cndmask_b32_e32 v6, v12, v6, vcc
	v_and_b32_e32 v12, 7, v6
	v_cmp_lt_i32_e32 vcc, 5, v12
	v_cmp_eq_u32_e64 s[0:1], 3, v12
	v_lshrrev_b32_e32 v6, 2, v6
	s_or_b64 vcc, s[0:1], vcc
	v_addc_co_u32_e32 v6, vcc, 0, v6, vcc
	v_cmp_gt_i32_e32 vcc, 31, v10
	s_nop 1
	v_cndmask_b32_e32 v6, v0, v6, vcc
	v_cmp_ne_u32_e32 vcc, 0, v3
	s_nop 1
	v_cndmask_b32_e64 v3, 0, 1, vcc
	v_lshl_or_b32 v3, v3, 9, v0
	v_cmp_eq_u32_e32 vcc, s8, v10
	v_and_b32_sdwa v10, v7, s9 dst_sel:DWORD dst_unused:UNUSED_PAD src0_sel:WORD_1 src1_sel:DWORD
	s_nop 0
	v_cndmask_b32_e32 v3, v6, v3, vcc
	v_cvt_f64_f32_e32 v[6:7], v9
	v_mul_f64 v[6:7], v[6:7], s[2:3]
	v_and_or_b32 v6, v7, s6, v6
	v_cmp_ne_u32_e32 vcc, 0, v6
	v_lshrrev_b32_e32 v9, 8, v7
	v_bfe_u32 v11, v7, 20, 11
	v_cndmask_b32_e64 v6, 0, 1, vcc
	v_and_or_b32 v6, v9, s7, v6
	v_sub_u32_e32 v12, 0x3f1, v11
	v_or_b32_e32 v9, 0x1000, v6
	v_med3_i32 v12, v12, 0, 13
	v_lshrrev_b32_e32 v14, v12, v9
	v_lshlrev_b32_e32 v12, v12, v14
	v_cmp_ne_u32_e32 vcc, v12, v9
	v_add_u32_e32 v11, 0xfffffc10, v11
	v_lshl_or_b32 v12, v11, 12, v6
	v_cndmask_b32_e64 v9, 0, 1, vcc
	v_or_b32_e32 v9, v14, v9
	v_cmp_gt_i32_e32 vcc, 1, v11
	v_lshrrev_b32_e32 v7, 16, v7
	v_bitop3_b32 v3, v10, s10, v3 bitop3:0xc8
	v_cndmask_b32_e32 v9, v12, v9, vcc
	v_and_b32_e32 v12, 7, v9
	v_cmp_lt_i32_e32 vcc, 5, v12
	v_cmp_eq_u32_e64 s[0:1], 3, v12
	v_lshrrev_b32_e32 v9, 2, v9
	s_or_b64 vcc, s[0:1], vcc
	v_addc_co_u32_e32 v9, vcc, 0, v9, vcc
	v_cmp_gt_i32_e32 vcc, 31, v11
	v_mad_u64_u32 v[4:5], s[0:1], s4, v2, v[4:5]
	s_nop 0
	v_cndmask_b32_e32 v9, v0, v9, vcc
	v_cmp_ne_u32_e32 vcc, 0, v6
	v_add_u32_e32 v5, s5, v5
	s_nop 0
	v_cndmask_b32_e64 v6, 0, 1, vcc
	v_lshl_or_b32 v6, v6, 9, v0
	v_cmp_eq_u32_e32 vcc, s8, v11
	s_nop 1
	v_cndmask_b32_e32 v6, v9, v6, vcc
	v_and_or_b32 v6, v7, s9, v6
	v_lshrrev_b32_e32 v9, 16, v15
	v_lshl_or_b32 v3, v6, 16, v3
	v_mul_f16_sdwa v6, v53, v9 dst_sel:DWORD dst_unused:UNUSED_PAD src0_sel:WORD_1 src1_sel:DWORD
	v_fma_f16 v6, v53, v15, v6
	v_cvt_f32_f16_e32 v6, v6
	global_store_dword v[4:5], v3, off
	v_cvt_f64_f32_e32 v[6:7], v6
	v_mul_f64 v[6:7], v[6:7], s[2:3]
	v_and_or_b32 v3, v7, s6, v6
	v_cmp_ne_u32_e32 vcc, 0, v3
	v_lshrrev_b32_e32 v6, 8, v7
	v_bfe_u32 v10, v7, 20, 11
	v_cndmask_b32_e64 v3, 0, 1, vcc
	v_and_or_b32 v3, v6, s7, v3
	v_sub_u32_e32 v11, 0x3f1, v10
	v_or_b32_e32 v6, 0x1000, v3
	v_med3_i32 v11, v11, 0, 13
	v_lshrrev_b32_e32 v12, v11, v6
	v_lshlrev_b32_e32 v11, v11, v12
	v_cmp_ne_u32_e32 vcc, v11, v6
	v_add_u32_e32 v10, 0xfffffc10, v10
	v_lshl_or_b32 v11, v10, 12, v3
	v_cndmask_b32_e64 v6, 0, 1, vcc
	v_or_b32_e32 v6, v12, v6
	v_cmp_gt_i32_e32 vcc, 1, v10
	v_and_b32_sdwa v12, v7, s9 dst_sel:DWORD dst_unused:UNUSED_PAD src0_sel:WORD_1 src1_sel:DWORD
	s_nop 0
	v_cndmask_b32_e32 v6, v11, v6, vcc
	v_and_b32_e32 v11, 7, v6
	v_cmp_lt_i32_e32 vcc, 5, v11
	v_cmp_eq_u32_e64 s[0:1], 3, v11
	v_lshrrev_b32_e32 v6, 2, v6
	s_or_b64 vcc, s[0:1], vcc
	v_mul_f16_sdwa v11, v53, v15 dst_sel:DWORD dst_unused:UNUSED_PAD src0_sel:WORD_1 src1_sel:DWORD
	v_addc_co_u32_e32 v6, vcc, 0, v6, vcc
	v_fma_f16 v9, v53, v9, -v11
	v_cmp_gt_i32_e32 vcc, 31, v10
	v_cvt_f32_f16_e32 v9, v9
	s_nop 0
	v_cndmask_b32_e32 v6, v0, v6, vcc
	v_cmp_ne_u32_e32 vcc, 0, v3
	s_nop 1
	v_cndmask_b32_e64 v3, 0, 1, vcc
	v_lshl_or_b32 v3, v3, 9, v0
	v_cmp_eq_u32_e32 vcc, s8, v10
	s_nop 1
	v_cndmask_b32_e32 v3, v6, v3, vcc
	v_cvt_f64_f32_e32 v[6:7], v9
	v_mul_f64 v[6:7], v[6:7], s[2:3]
	v_and_or_b32 v6, v7, s6, v6
	v_cmp_ne_u32_e32 vcc, 0, v6
	v_lshrrev_b32_e32 v9, 8, v7
	v_bfe_u32 v10, v7, 20, 11
	v_cndmask_b32_e64 v6, 0, 1, vcc
	v_and_or_b32 v6, v9, s7, v6
	v_sub_u32_e32 v11, 0x3f1, v10
	v_or_b32_e32 v9, 0x1000, v6
	v_med3_i32 v11, v11, 0, 13
	v_lshrrev_b32_e32 v14, v11, v9
	v_lshlrev_b32_e32 v11, v11, v14
	v_cmp_ne_u32_e32 vcc, v11, v9
	v_add_u32_e32 v10, 0xfffffc10, v10
	v_lshl_or_b32 v11, v10, 12, v6
	v_cndmask_b32_e64 v9, 0, 1, vcc
	v_or_b32_e32 v9, v14, v9
	v_cmp_gt_i32_e32 vcc, 1, v10
	v_lshrrev_b32_e32 v7, 16, v7
	v_bitop3_b32 v3, v12, s10, v3 bitop3:0xc8
	v_cndmask_b32_e32 v9, v11, v9, vcc
	v_and_b32_e32 v11, 7, v9
	v_cmp_lt_i32_e32 vcc, 5, v11
	v_cmp_eq_u32_e64 s[0:1], 3, v11
	v_lshrrev_b32_e32 v9, 2, v9
	s_or_b64 vcc, s[0:1], vcc
	v_addc_co_u32_e32 v9, vcc, 0, v9, vcc
	v_cmp_gt_i32_e32 vcc, 31, v10
	v_mad_u64_u32 v[4:5], s[0:1], s4, v1, v[4:5]
	s_nop 0
	v_cndmask_b32_e32 v9, v0, v9, vcc
	v_cmp_ne_u32_e32 vcc, 0, v6
	v_add_u32_e32 v5, s11, v5
	s_nop 0
	v_cndmask_b32_e64 v6, 0, 1, vcc
	v_lshl_or_b32 v6, v6, 9, v0
	v_cmp_eq_u32_e32 vcc, s8, v10
	s_nop 1
	v_cndmask_b32_e32 v6, v9, v6, vcc
	v_add_u32_e32 v9, 0x200, v8
	ds_read2_b32 v[10:11], v9 offset0:124 offset1:187
	v_and_or_b32 v6, v7, s9, v6
	v_lshl_or_b32 v3, v6, 16, v3
	global_store_dword v[4:5], v3, off
	v_add_u32_e32 v8, 0x800, v8
	s_waitcnt lgkmcnt(0)
	v_lshrrev_b32_e32 v9, 16, v10
	v_mul_f16_sdwa v6, v52, v9 dst_sel:DWORD dst_unused:UNUSED_PAD src0_sel:WORD_1 src1_sel:DWORD
	v_fma_f16 v6, v52, v10, v6
	v_cvt_f32_f16_e32 v6, v6
	v_mul_f16_sdwa v10, v52, v10 dst_sel:DWORD dst_unused:UNUSED_PAD src0_sel:WORD_1 src1_sel:DWORD
	v_fma_f16 v9, v52, v9, -v10
	v_cvt_f32_f16_e32 v9, v9
	v_cvt_f64_f32_e32 v[6:7], v6
	v_mul_f64 v[6:7], v[6:7], s[2:3]
	v_and_or_b32 v3, v7, s6, v6
	v_cmp_ne_u32_e32 vcc, 0, v3
	v_lshrrev_b32_e32 v6, 8, v7
	v_bfe_u32 v12, v7, 20, 11
	v_cndmask_b32_e64 v3, 0, 1, vcc
	v_and_or_b32 v3, v6, s7, v3
	v_sub_u32_e32 v14, 0x3f1, v12
	v_or_b32_e32 v6, 0x1000, v3
	v_med3_i32 v14, v14, 0, 13
	v_lshrrev_b32_e32 v15, v14, v6
	v_lshlrev_b32_e32 v14, v14, v15
	v_cmp_ne_u32_e32 vcc, v14, v6
	v_add_u32_e32 v12, 0xfffffc10, v12
	v_lshl_or_b32 v14, v12, 12, v3
	v_cndmask_b32_e64 v6, 0, 1, vcc
	v_or_b32_e32 v6, v15, v6
	v_cmp_gt_i32_e32 vcc, 1, v12
	v_and_b32_sdwa v10, v7, s9 dst_sel:DWORD dst_unused:UNUSED_PAD src0_sel:WORD_1 src1_sel:DWORD
	s_nop 0
	v_cndmask_b32_e32 v6, v14, v6, vcc
	v_and_b32_e32 v14, 7, v6
	v_cmp_lt_i32_e32 vcc, 5, v14
	v_cmp_eq_u32_e64 s[0:1], 3, v14
	v_lshrrev_b32_e32 v6, 2, v6
	s_or_b64 vcc, s[0:1], vcc
	v_addc_co_u32_e32 v6, vcc, 0, v6, vcc
	v_cmp_gt_i32_e32 vcc, 31, v12
	s_nop 1
	v_cndmask_b32_e32 v6, v0, v6, vcc
	v_cmp_ne_u32_e32 vcc, 0, v3
	s_nop 1
	v_cndmask_b32_e64 v3, 0, 1, vcc
	v_lshl_or_b32 v3, v3, 9, v0
	v_cmp_eq_u32_e32 vcc, s8, v12
	s_nop 1
	v_cndmask_b32_e32 v3, v6, v3, vcc
	v_cvt_f64_f32_e32 v[6:7], v9
	v_mul_f64 v[6:7], v[6:7], s[2:3]
	v_and_or_b32 v6, v7, s6, v6
	v_cmp_ne_u32_e32 vcc, 0, v6
	v_lshrrev_b32_e32 v9, 8, v7
	v_bfe_u32 v12, v7, 20, 11
	v_cndmask_b32_e64 v6, 0, 1, vcc
	v_and_or_b32 v6, v9, s7, v6
	v_sub_u32_e32 v14, 0x3f1, v12
	v_or_b32_e32 v9, 0x1000, v6
	v_med3_i32 v14, v14, 0, 13
	v_lshrrev_b32_e32 v15, v14, v9
	v_lshlrev_b32_e32 v14, v14, v15
	v_cmp_ne_u32_e32 vcc, v14, v9
	v_add_u32_e32 v12, 0xfffffc10, v12
	v_lshl_or_b32 v14, v12, 12, v6
	v_cndmask_b32_e64 v9, 0, 1, vcc
	v_or_b32_e32 v9, v15, v9
	v_cmp_gt_i32_e32 vcc, 1, v12
	v_lshrrev_b32_e32 v7, 16, v7
	v_bitop3_b32 v3, v10, s10, v3 bitop3:0xc8
	v_cndmask_b32_e32 v9, v14, v9, vcc
	v_and_b32_e32 v14, 7, v9
	v_cmp_lt_i32_e32 vcc, 5, v14
	v_cmp_eq_u32_e64 s[0:1], 3, v14
	v_lshrrev_b32_e32 v9, 2, v9
	s_or_b64 vcc, s[0:1], vcc
	v_addc_co_u32_e32 v9, vcc, 0, v9, vcc
	v_cmp_gt_i32_e32 vcc, 31, v12
	v_mad_u64_u32 v[4:5], s[0:1], s4, v2, v[4:5]
	s_nop 0
	v_cndmask_b32_e32 v9, v0, v9, vcc
	v_cmp_ne_u32_e32 vcc, 0, v6
	v_add_u32_e32 v5, s5, v5
	s_nop 0
	v_cndmask_b32_e64 v6, 0, 1, vcc
	v_lshl_or_b32 v6, v6, 9, v0
	v_cmp_eq_u32_e32 vcc, s8, v12
	s_nop 1
	v_cndmask_b32_e32 v6, v9, v6, vcc
	ds_read2_b32 v[8:9], v8 offset0:118 offset1:181
	v_and_or_b32 v6, v7, s9, v6
	v_lshl_or_b32 v3, v6, 16, v3
	global_store_dword v[4:5], v3, off
	s_waitcnt lgkmcnt(0)
	v_lshrrev_b32_e32 v10, 16, v8
	v_mul_f16_sdwa v6, v51, v10 dst_sel:DWORD dst_unused:UNUSED_PAD src0_sel:WORD_1 src1_sel:DWORD
	v_fma_f16 v6, v51, v8, v6
	v_cvt_f32_f16_e32 v6, v6
	v_mul_f16_sdwa v8, v51, v8 dst_sel:DWORD dst_unused:UNUSED_PAD src0_sel:WORD_1 src1_sel:DWORD
	v_fma_f16 v8, v51, v10, -v8
	v_cvt_f32_f16_e32 v8, v8
	v_cvt_f64_f32_e32 v[6:7], v6
	v_mul_f64 v[6:7], v[6:7], s[2:3]
	v_and_or_b32 v3, v7, s6, v6
	v_cmp_ne_u32_e32 vcc, 0, v3
	v_lshrrev_b32_e32 v6, 8, v7
	v_bfe_u32 v12, v7, 20, 11
	v_cndmask_b32_e64 v3, 0, 1, vcc
	v_and_or_b32 v3, v6, s7, v3
	v_sub_u32_e32 v14, 0x3f1, v12
	v_or_b32_e32 v6, 0x1000, v3
	v_med3_i32 v14, v14, 0, 13
	v_lshrrev_b32_e32 v15, v14, v6
	v_lshlrev_b32_e32 v14, v14, v15
	v_cmp_ne_u32_e32 vcc, v14, v6
	v_add_u32_e32 v12, 0xfffffc10, v12
	v_lshl_or_b32 v14, v12, 12, v3
	v_cndmask_b32_e64 v6, 0, 1, vcc
	v_or_b32_e32 v6, v15, v6
	v_cmp_gt_i32_e32 vcc, 1, v12
	v_and_b32_sdwa v10, v7, s9 dst_sel:DWORD dst_unused:UNUSED_PAD src0_sel:WORD_1 src1_sel:DWORD
	s_nop 0
	v_cndmask_b32_e32 v6, v14, v6, vcc
	v_and_b32_e32 v14, 7, v6
	v_cmp_lt_i32_e32 vcc, 5, v14
	v_cmp_eq_u32_e64 s[0:1], 3, v14
	v_lshrrev_b32_e32 v6, 2, v6
	s_or_b64 vcc, s[0:1], vcc
	v_addc_co_u32_e32 v6, vcc, 0, v6, vcc
	v_cmp_gt_i32_e32 vcc, 31, v12
	s_nop 1
	v_cndmask_b32_e32 v6, v0, v6, vcc
	v_cmp_ne_u32_e32 vcc, 0, v3
	s_nop 1
	v_cndmask_b32_e64 v3, 0, 1, vcc
	v_lshl_or_b32 v3, v3, 9, v0
	v_cmp_eq_u32_e32 vcc, s8, v12
	s_nop 1
	v_cndmask_b32_e32 v3, v6, v3, vcc
	v_cvt_f64_f32_e32 v[6:7], v8
	v_mul_f64 v[6:7], v[6:7], s[2:3]
	v_and_or_b32 v6, v7, s6, v6
	v_cmp_ne_u32_e32 vcc, 0, v6
	v_lshrrev_b32_e32 v8, 8, v7
	v_bfe_u32 v12, v7, 20, 11
	v_cndmask_b32_e64 v6, 0, 1, vcc
	v_and_or_b32 v6, v8, s7, v6
	v_sub_u32_e32 v14, 0x3f1, v12
	v_or_b32_e32 v8, 0x1000, v6
	v_med3_i32 v14, v14, 0, 13
	v_lshrrev_b32_e32 v15, v14, v8
	v_lshlrev_b32_e32 v14, v14, v15
	v_cmp_ne_u32_e32 vcc, v14, v8
	v_add_u32_e32 v12, 0xfffffc10, v12
	v_lshl_or_b32 v14, v12, 12, v6
	v_cndmask_b32_e64 v8, 0, 1, vcc
	v_or_b32_e32 v8, v15, v8
	v_cmp_gt_i32_e32 vcc, 1, v12
	v_lshrrev_b32_e32 v7, 16, v7
	v_bitop3_b32 v3, v10, s10, v3 bitop3:0xc8
	v_cndmask_b32_e32 v8, v14, v8, vcc
	v_and_b32_e32 v14, 7, v8
	v_cmp_lt_i32_e32 vcc, 5, v14
	v_cmp_eq_u32_e64 s[0:1], 3, v14
	v_lshrrev_b32_e32 v8, 2, v8
	s_or_b64 vcc, s[0:1], vcc
	v_addc_co_u32_e32 v8, vcc, 0, v8, vcc
	v_cmp_gt_i32_e32 vcc, 31, v12
	v_mad_u64_u32 v[4:5], s[0:1], s4, v1, v[4:5]
	s_nop 0
	v_cndmask_b32_e32 v8, v0, v8, vcc
	v_cmp_ne_u32_e32 vcc, 0, v6
	v_add_u32_e32 v5, s11, v5
	s_nop 0
	v_cndmask_b32_e64 v6, 0, 1, vcc
	v_lshl_or_b32 v6, v6, 9, v0
	v_cmp_eq_u32_e32 vcc, s8, v12
	s_nop 1
	v_cndmask_b32_e32 v6, v8, v6, vcc
	v_and_or_b32 v6, v7, s9, v6
	v_lshrrev_b32_e32 v8, 16, v11
	v_lshl_or_b32 v3, v6, 16, v3
	v_mul_f16_sdwa v6, v50, v8 dst_sel:DWORD dst_unused:UNUSED_PAD src0_sel:WORD_1 src1_sel:DWORD
	v_fma_f16 v6, v50, v11, v6
	v_cvt_f32_f16_e32 v6, v6
	global_store_dword v[4:5], v3, off
	v_mul_f16_sdwa v11, v50, v11 dst_sel:DWORD dst_unused:UNUSED_PAD src0_sel:WORD_1 src1_sel:DWORD
	v_fma_f16 v8, v50, v8, -v11
	v_cvt_f64_f32_e32 v[6:7], v6
	v_mul_f64 v[6:7], v[6:7], s[2:3]
	v_and_or_b32 v3, v7, s6, v6
	v_cmp_ne_u32_e32 vcc, 0, v3
	v_lshrrev_b32_e32 v6, 8, v7
	v_bfe_u32 v10, v7, 20, 11
	v_cndmask_b32_e64 v3, 0, 1, vcc
	v_and_or_b32 v3, v6, s7, v3
	v_sub_u32_e32 v12, 0x3f1, v10
	v_or_b32_e32 v6, 0x1000, v3
	v_med3_i32 v12, v12, 0, 13
	v_lshrrev_b32_e32 v14, v12, v6
	v_lshlrev_b32_e32 v12, v12, v14
	v_cmp_ne_u32_e32 vcc, v12, v6
	v_add_u32_e32 v10, 0xfffffc10, v10
	v_lshl_or_b32 v12, v10, 12, v3
	v_cndmask_b32_e64 v6, 0, 1, vcc
	v_or_b32_e32 v6, v14, v6
	v_cmp_gt_i32_e32 vcc, 1, v10
	v_cvt_f32_f16_e32 v8, v8
	s_nop 0
	v_cndmask_b32_e32 v6, v12, v6, vcc
	v_and_b32_e32 v12, 7, v6
	v_cmp_lt_i32_e32 vcc, 5, v12
	v_cmp_eq_u32_e64 s[0:1], 3, v12
	v_lshrrev_b32_e32 v6, 2, v6
	s_or_b64 vcc, s[0:1], vcc
	v_addc_co_u32_e32 v6, vcc, 0, v6, vcc
	v_cmp_gt_i32_e32 vcc, 31, v10
	s_nop 1
	v_cndmask_b32_e32 v6, v0, v6, vcc
	v_cmp_ne_u32_e32 vcc, 0, v3
	s_nop 1
	v_cndmask_b32_e64 v3, 0, 1, vcc
	v_lshl_or_b32 v3, v3, 9, v0
	v_cmp_eq_u32_e32 vcc, s8, v10
	v_and_b32_sdwa v10, v7, s9 dst_sel:DWORD dst_unused:UNUSED_PAD src0_sel:WORD_1 src1_sel:DWORD
	s_nop 0
	v_cndmask_b32_e32 v3, v6, v3, vcc
	v_cvt_f64_f32_e32 v[6:7], v8
	v_mul_f64 v[6:7], v[6:7], s[2:3]
	v_and_or_b32 v6, v7, s6, v6
	v_cmp_ne_u32_e32 vcc, 0, v6
	v_lshrrev_b32_e32 v8, 8, v7
	v_bfe_u32 v11, v7, 20, 11
	v_cndmask_b32_e64 v6, 0, 1, vcc
	v_and_or_b32 v6, v8, s7, v6
	v_sub_u32_e32 v12, 0x3f1, v11
	v_or_b32_e32 v8, 0x1000, v6
	v_med3_i32 v12, v12, 0, 13
	v_lshrrev_b32_e32 v14, v12, v8
	v_lshlrev_b32_e32 v12, v12, v14
	v_cmp_ne_u32_e32 vcc, v12, v8
	v_add_u32_e32 v11, 0xfffffc10, v11
	v_lshl_or_b32 v12, v11, 12, v6
	v_cndmask_b32_e64 v8, 0, 1, vcc
	v_or_b32_e32 v8, v14, v8
	v_cmp_gt_i32_e32 vcc, 1, v11
	v_lshrrev_b32_e32 v7, 16, v7
	v_bitop3_b32 v3, v10, s10, v3 bitop3:0xc8
	v_cndmask_b32_e32 v8, v12, v8, vcc
	v_and_b32_e32 v12, 7, v8
	v_cmp_lt_i32_e32 vcc, 5, v12
	v_cmp_eq_u32_e64 s[0:1], 3, v12
	v_lshrrev_b32_e32 v8, 2, v8
	s_or_b64 vcc, s[0:1], vcc
	v_addc_co_u32_e32 v8, vcc, 0, v8, vcc
	v_cmp_gt_i32_e32 vcc, 31, v11
	s_nop 1
	v_cndmask_b32_e32 v8, v0, v8, vcc
	v_cmp_ne_u32_e32 vcc, 0, v6
	s_nop 1
	v_cndmask_b32_e64 v6, 0, 1, vcc
	v_lshl_or_b32 v6, v6, 9, v0
	v_cmp_eq_u32_e32 vcc, s8, v11
	s_nop 1
	v_cndmask_b32_e32 v6, v8, v6, vcc
	v_and_or_b32 v6, v7, s9, v6
	v_lshrrev_b32_e32 v7, 16, v9
	v_lshl_or_b32 v6, v6, 16, v3
	v_mul_f16_sdwa v3, v13, v7 dst_sel:DWORD dst_unused:UNUSED_PAD src0_sel:WORD_1 src1_sel:DWORD
	v_fma_f16 v3, v13, v9, v3
	v_cvt_f32_f16_e32 v8, v3
	v_mad_u64_u32 v[2:3], s[0:1], s4, v2, v[4:5]
	v_add_u32_e32 v3, s5, v3
	v_cvt_f64_f32_e32 v[4:5], v8
	v_mul_f64 v[4:5], v[4:5], s[2:3]
	v_and_or_b32 v4, v5, s6, v4
	v_cmp_ne_u32_e32 vcc, 0, v4
	global_store_dword v[2:3], v6, off
	v_lshrrev_b32_e32 v6, 8, v5
	v_cndmask_b32_e64 v4, 0, 1, vcc
	v_bfe_u32 v8, v5, 20, 11
	v_and_or_b32 v4, v6, s7, v4
	v_sub_u32_e32 v10, 0x3f1, v8
	v_or_b32_e32 v6, 0x1000, v4
	v_med3_i32 v10, v10, 0, 13
	v_lshrrev_b32_e32 v11, v10, v6
	v_lshlrev_b32_e32 v10, v10, v11
	v_cmp_ne_u32_e32 vcc, v10, v6
	v_add_u32_e32 v8, 0xfffffc10, v8
	v_lshl_or_b32 v10, v8, 12, v4
	v_cndmask_b32_e64 v6, 0, 1, vcc
	v_or_b32_e32 v6, v11, v6
	v_cmp_gt_i32_e32 vcc, 1, v8
	v_mul_f16_sdwa v9, v13, v9 dst_sel:DWORD dst_unused:UNUSED_PAD src0_sel:WORD_1 src1_sel:DWORD
	v_fma_f16 v7, v13, v7, -v9
	v_cndmask_b32_e32 v6, v10, v6, vcc
	v_and_b32_e32 v10, 7, v6
	v_cmp_lt_i32_e32 vcc, 5, v10
	v_cmp_eq_u32_e64 s[0:1], 3, v10
	v_lshrrev_b32_e32 v6, 2, v6
	s_or_b64 vcc, s[0:1], vcc
	v_addc_co_u32_e32 v6, vcc, 0, v6, vcc
	v_cmp_gt_i32_e32 vcc, 31, v8
	v_cvt_f32_f16_e32 v7, v7
	s_nop 0
	v_cndmask_b32_e32 v6, v0, v6, vcc
	v_cmp_ne_u32_e32 vcc, 0, v4
	s_nop 1
	v_cndmask_b32_e64 v4, 0, 1, vcc
	v_lshl_or_b32 v4, v4, 9, v0
	v_cmp_eq_u32_e32 vcc, s8, v8
	v_and_b32_sdwa v8, v5, s9 dst_sel:DWORD dst_unused:UNUSED_PAD src0_sel:WORD_1 src1_sel:DWORD
	s_nop 0
	v_cndmask_b32_e32 v6, v6, v4, vcc
	v_cvt_f64_f32_e32 v[4:5], v7
	v_mul_f64 v[4:5], v[4:5], s[2:3]
	v_and_or_b32 v4, v5, s6, v4
	v_cmp_ne_u32_e32 vcc, 0, v4
	v_lshrrev_b32_e32 v7, 8, v5
	v_bfe_u32 v9, v5, 20, 11
	v_cndmask_b32_e64 v4, 0, 1, vcc
	v_and_or_b32 v4, v7, s7, v4
	v_sub_u32_e32 v10, 0x3f1, v9
	v_or_b32_e32 v7, 0x1000, v4
	v_med3_i32 v10, v10, 0, 13
	v_lshrrev_b32_e32 v11, v10, v7
	v_lshlrev_b32_e32 v10, v10, v11
	v_cmp_ne_u32_e32 vcc, v10, v7
	v_add_u32_e32 v9, 0xfffffc10, v9
	v_lshl_or_b32 v10, v9, 12, v4
	v_cndmask_b32_e64 v7, 0, 1, vcc
	v_or_b32_e32 v7, v11, v7
	v_cmp_gt_i32_e32 vcc, 1, v9
	s_nop 1
	v_cndmask_b32_e32 v7, v10, v7, vcc
	v_and_b32_e32 v10, 7, v7
	v_cmp_lt_i32_e32 vcc, 5, v10
	v_cmp_eq_u32_e64 s[0:1], 3, v10
	v_lshrrev_b32_e32 v7, 2, v7
	s_or_b64 vcc, s[0:1], vcc
	v_addc_co_u32_e32 v7, vcc, 0, v7, vcc
	v_cmp_gt_i32_e32 vcc, 31, v9
	s_nop 1
	v_cndmask_b32_e32 v7, v0, v7, vcc
	v_cmp_ne_u32_e32 vcc, 0, v4
	s_nop 1
	v_cndmask_b32_e64 v4, 0, 1, vcc
	v_lshl_or_b32 v0, v4, 9, v0
	v_cmp_eq_u32_e32 vcc, s8, v9
	v_lshrrev_b32_e32 v4, 16, v5
	s_nop 0
	v_cndmask_b32_e32 v0, v7, v0, vcc
	v_and_or_b32 v0, v4, s9, v0
	v_bitop3_b32 v4, v8, s10, v6 bitop3:0xc8
	v_lshl_or_b32 v4, v0, 16, v4
	v_mad_u64_u32 v[0:1], s[0:1], s4, v1, v[2:3]
	v_add_u32_e32 v1, s11, v1
	global_store_dword v[0:1], v4, off
.LBB0_10:
	s_endpgm
	.section	.rodata,"a",@progbits
	.p2align	6, 0x0
	.amdhsa_kernel bluestein_single_back_len756_dim1_half_op_CI_CI
		.amdhsa_group_segment_fixed_size 3024
		.amdhsa_private_segment_fixed_size 0
		.amdhsa_kernarg_size 104
		.amdhsa_user_sgpr_count 2
		.amdhsa_user_sgpr_dispatch_ptr 0
		.amdhsa_user_sgpr_queue_ptr 0
		.amdhsa_user_sgpr_kernarg_segment_ptr 1
		.amdhsa_user_sgpr_dispatch_id 0
		.amdhsa_user_sgpr_kernarg_preload_length 0
		.amdhsa_user_sgpr_kernarg_preload_offset 0
		.amdhsa_user_sgpr_private_segment_size 0
		.amdhsa_uses_dynamic_stack 0
		.amdhsa_enable_private_segment 0
		.amdhsa_system_sgpr_workgroup_id_x 1
		.amdhsa_system_sgpr_workgroup_id_y 0
		.amdhsa_system_sgpr_workgroup_id_z 0
		.amdhsa_system_sgpr_workgroup_info 0
		.amdhsa_system_vgpr_workitem_id 0
		.amdhsa_next_free_vgpr 128
		.amdhsa_next_free_sgpr 16
		.amdhsa_accum_offset 128
		.amdhsa_reserve_vcc 1
		.amdhsa_float_round_mode_32 0
		.amdhsa_float_round_mode_16_64 0
		.amdhsa_float_denorm_mode_32 3
		.amdhsa_float_denorm_mode_16_64 3
		.amdhsa_dx10_clamp 1
		.amdhsa_ieee_mode 1
		.amdhsa_fp16_overflow 0
		.amdhsa_tg_split 0
		.amdhsa_exception_fp_ieee_invalid_op 0
		.amdhsa_exception_fp_denorm_src 0
		.amdhsa_exception_fp_ieee_div_zero 0
		.amdhsa_exception_fp_ieee_overflow 0
		.amdhsa_exception_fp_ieee_underflow 0
		.amdhsa_exception_fp_ieee_inexact 0
		.amdhsa_exception_int_div_zero 0
	.end_amdhsa_kernel
	.text
.Lfunc_end0:
	.size	bluestein_single_back_len756_dim1_half_op_CI_CI, .Lfunc_end0-bluestein_single_back_len756_dim1_half_op_CI_CI
                                        ; -- End function
	.section	.AMDGPU.csdata,"",@progbits
; Kernel info:
; codeLenInByte = 19592
; NumSgprs: 22
; NumVgprs: 128
; NumAgprs: 0
; TotalNumVgprs: 128
; ScratchSize: 0
; MemoryBound: 0
; FloatMode: 240
; IeeeMode: 1
; LDSByteSize: 3024 bytes/workgroup (compile time only)
; SGPRBlocks: 2
; VGPRBlocks: 15
; NumSGPRsForWavesPerEU: 22
; NumVGPRsForWavesPerEU: 128
; AccumOffset: 128
; Occupancy: 4
; WaveLimiterHint : 1
; COMPUTE_PGM_RSRC2:SCRATCH_EN: 0
; COMPUTE_PGM_RSRC2:USER_SGPR: 2
; COMPUTE_PGM_RSRC2:TRAP_HANDLER: 0
; COMPUTE_PGM_RSRC2:TGID_X_EN: 1
; COMPUTE_PGM_RSRC2:TGID_Y_EN: 0
; COMPUTE_PGM_RSRC2:TGID_Z_EN: 0
; COMPUTE_PGM_RSRC2:TIDIG_COMP_CNT: 0
; COMPUTE_PGM_RSRC3_GFX90A:ACCUM_OFFSET: 31
; COMPUTE_PGM_RSRC3_GFX90A:TG_SPLIT: 0
	.text
	.p2alignl 6, 3212836864
	.fill 256, 4, 3212836864
	.type	__hip_cuid_1611cbf5c1d3278e,@object ; @__hip_cuid_1611cbf5c1d3278e
	.section	.bss,"aw",@nobits
	.globl	__hip_cuid_1611cbf5c1d3278e
__hip_cuid_1611cbf5c1d3278e:
	.byte	0                               ; 0x0
	.size	__hip_cuid_1611cbf5c1d3278e, 1

	.ident	"AMD clang version 19.0.0git (https://github.com/RadeonOpenCompute/llvm-project roc-6.4.0 25133 c7fe45cf4b819c5991fe208aaa96edf142730f1d)"
	.section	".note.GNU-stack","",@progbits
	.addrsig
	.addrsig_sym __hip_cuid_1611cbf5c1d3278e
	.amdgpu_metadata
---
amdhsa.kernels:
  - .agpr_count:     0
    .args:
      - .actual_access:  read_only
        .address_space:  global
        .offset:         0
        .size:           8
        .value_kind:     global_buffer
      - .actual_access:  read_only
        .address_space:  global
        .offset:         8
        .size:           8
        .value_kind:     global_buffer
      - .actual_access:  read_only
        .address_space:  global
        .offset:         16
        .size:           8
        .value_kind:     global_buffer
      - .actual_access:  read_only
        .address_space:  global
        .offset:         24
        .size:           8
        .value_kind:     global_buffer
      - .actual_access:  read_only
        .address_space:  global
        .offset:         32
        .size:           8
        .value_kind:     global_buffer
      - .offset:         40
        .size:           8
        .value_kind:     by_value
      - .address_space:  global
        .offset:         48
        .size:           8
        .value_kind:     global_buffer
      - .address_space:  global
        .offset:         56
        .size:           8
        .value_kind:     global_buffer
      - .address_space:  global
        .offset:         64
        .size:           8
        .value_kind:     global_buffer
      - .address_space:  global
        .offset:         72
        .size:           8
        .value_kind:     global_buffer
      - .offset:         80
        .size:           4
        .value_kind:     by_value
      - .address_space:  global
        .offset:         88
        .size:           8
        .value_kind:     global_buffer
      - .address_space:  global
        .offset:         96
        .size:           8
        .value_kind:     global_buffer
    .group_segment_fixed_size: 3024
    .kernarg_segment_align: 8
    .kernarg_segment_size: 104
    .language:       OpenCL C
    .language_version:
      - 2
      - 0
    .max_flat_workgroup_size: 63
    .name:           bluestein_single_back_len756_dim1_half_op_CI_CI
    .private_segment_fixed_size: 0
    .sgpr_count:     22
    .sgpr_spill_count: 0
    .symbol:         bluestein_single_back_len756_dim1_half_op_CI_CI.kd
    .uniform_work_group_size: 1
    .uses_dynamic_stack: false
    .vgpr_count:     128
    .vgpr_spill_count: 0
    .wavefront_size: 64
amdhsa.target:   amdgcn-amd-amdhsa--gfx950
amdhsa.version:
  - 1
  - 2
...

	.end_amdgpu_metadata
